;; amdgpu-corpus repo=zjin-lcf/HeCBench kind=compiled arch=gfx906 opt=O3
	.amdgcn_target "amdgcn-amd-amdhsa--gfx906"
	.amdhsa_code_object_version 6
	.text
	.protected	_Z6Match1PKfS0_PfPi     ; -- Begin function _Z6Match1PKfS0_PfPi
	.globl	_Z6Match1PKfS0_PfPi
	.p2align	8
	.type	_Z6Match1PKfS0_PfPi,@function
_Z6Match1PKfS0_PfPi:                    ; @_Z6Match1PKfS0_PfPi
; %bb.0:
	s_load_dwordx8 s[8:15], s[4:5], 0x0
	v_lshl_add_u32 v0, s6, 7, v0
	v_lshlrev_b32_e32 v1, 7, v0
	v_ashrrev_i32_e32 v2, 31, v1
	v_lshlrev_b64 v[1:2], 2, v[1:2]
	s_waitcnt lgkmcnt(0)
	v_mov_b32_e32 v3, s9
	v_add_co_u32_e32 v1, vcc, s8, v1
	v_addc_co_u32_e32 v4, vcc, v3, v2, vcc
	v_mov_b32_e32 v3, 0
	v_mov_b32_e32 v2, -1
	s_mov_b32 s2, 0
.LBB0_1:                                ; =>This Loop Header: Depth=1
                                        ;     Child Loop BB0_2 Depth 2
	s_mov_b64 s[0:1], 0
	v_mov_b32_e32 v5, 0
.LBB0_2:                                ;   Parent Loop BB0_1 Depth=1
                                        ; =>  This Inner Loop Header: Depth=2
	v_mov_b32_e32 v6, s1
	v_add_co_u32_e32 v14, vcc, s0, v1
	v_addc_co_u32_e32 v15, vcc, v4, v6, vcc
	global_load_dwordx4 v[6:9], v[14:15], off
	global_load_dwordx4 v[10:13], v[14:15], off offset:16
	s_add_u32 s4, s10, s0
	s_addc_u32 s5, s11, s1
	s_load_dwordx8 s[16:23], s[4:5], 0x0
	s_add_u32 s0, s0, 32
	s_addc_u32 s1, s1, 0
	s_cmpk_eq_i32 s0, 0x200
	s_waitcnt vmcnt(1) lgkmcnt(0)
	v_fmac_f32_e32 v5, s16, v6
	v_fmac_f32_e32 v5, s17, v7
	;; [unrolled: 1-line block ×4, first 2 shown]
	s_waitcnt vmcnt(0)
	v_fmac_f32_e32 v5, s20, v10
	v_fmac_f32_e32 v5, s21, v11
	;; [unrolled: 1-line block ×4, first 2 shown]
	s_cbranch_scc0 .LBB0_2
; %bb.3:                                ;   in Loop: Header=BB0_1 Depth=1
	v_cmp_gt_f32_e32 vcc, v5, v3
	v_cndmask_b32_e32 v3, v3, v5, vcc
	v_mov_b32_e32 v5, s2
	s_add_i32 s2, s2, 1
	s_add_u32 s10, s10, 0x200
	s_addc_u32 s11, s11, 0
	s_cmpk_eq_i32 s2, 0x4000
	v_cndmask_b32_e32 v2, v2, v5, vcc
	s_cbranch_scc0 .LBB0_1
; %bb.4:
	v_ashrrev_i32_e32 v1, 31, v0
	v_lshlrev_b64 v[0:1], 2, v[0:1]
	v_mov_b32_e32 v5, s13
	v_add_co_u32_e32 v4, vcc, s12, v0
	v_addc_co_u32_e32 v5, vcc, v5, v1, vcc
	global_store_dword v[4:5], v3, off
	v_mov_b32_e32 v3, s15
	v_add_co_u32_e32 v0, vcc, s14, v0
	v_addc_co_u32_e32 v1, vcc, v3, v1, vcc
	global_store_dword v[0:1], v2, off
	s_endpgm
	.section	.rodata,"a",@progbits
	.p2align	6, 0x0
	.amdhsa_kernel _Z6Match1PKfS0_PfPi
		.amdhsa_group_segment_fixed_size 0
		.amdhsa_private_segment_fixed_size 0
		.amdhsa_kernarg_size 32
		.amdhsa_user_sgpr_count 6
		.amdhsa_user_sgpr_private_segment_buffer 1
		.amdhsa_user_sgpr_dispatch_ptr 0
		.amdhsa_user_sgpr_queue_ptr 0
		.amdhsa_user_sgpr_kernarg_segment_ptr 1
		.amdhsa_user_sgpr_dispatch_id 0
		.amdhsa_user_sgpr_flat_scratch_init 0
		.amdhsa_user_sgpr_private_segment_size 0
		.amdhsa_uses_dynamic_stack 0
		.amdhsa_system_sgpr_private_segment_wavefront_offset 0
		.amdhsa_system_sgpr_workgroup_id_x 1
		.amdhsa_system_sgpr_workgroup_id_y 0
		.amdhsa_system_sgpr_workgroup_id_z 0
		.amdhsa_system_sgpr_workgroup_info 0
		.amdhsa_system_vgpr_workitem_id 0
		.amdhsa_next_free_vgpr 16
		.amdhsa_next_free_sgpr 24
		.amdhsa_reserve_vcc 1
		.amdhsa_reserve_flat_scratch 0
		.amdhsa_float_round_mode_32 0
		.amdhsa_float_round_mode_16_64 0
		.amdhsa_float_denorm_mode_32 3
		.amdhsa_float_denorm_mode_16_64 3
		.amdhsa_dx10_clamp 1
		.amdhsa_ieee_mode 1
		.amdhsa_fp16_overflow 0
		.amdhsa_exception_fp_ieee_invalid_op 0
		.amdhsa_exception_fp_denorm_src 0
		.amdhsa_exception_fp_ieee_div_zero 0
		.amdhsa_exception_fp_ieee_overflow 0
		.amdhsa_exception_fp_ieee_underflow 0
		.amdhsa_exception_fp_ieee_inexact 0
		.amdhsa_exception_int_div_zero 0
	.end_amdhsa_kernel
	.text
.Lfunc_end0:
	.size	_Z6Match1PKfS0_PfPi, .Lfunc_end0-_Z6Match1PKfS0_PfPi
                                        ; -- End function
	.set _Z6Match1PKfS0_PfPi.num_vgpr, 16
	.set _Z6Match1PKfS0_PfPi.num_agpr, 0
	.set _Z6Match1PKfS0_PfPi.numbered_sgpr, 24
	.set _Z6Match1PKfS0_PfPi.num_named_barrier, 0
	.set _Z6Match1PKfS0_PfPi.private_seg_size, 0
	.set _Z6Match1PKfS0_PfPi.uses_vcc, 1
	.set _Z6Match1PKfS0_PfPi.uses_flat_scratch, 0
	.set _Z6Match1PKfS0_PfPi.has_dyn_sized_stack, 0
	.set _Z6Match1PKfS0_PfPi.has_recursion, 0
	.set _Z6Match1PKfS0_PfPi.has_indirect_call, 0
	.section	.AMDGPU.csdata,"",@progbits
; Kernel info:
; codeLenInByte = 264
; TotalNumSgprs: 28
; NumVgprs: 16
; ScratchSize: 0
; MemoryBound: 0
; FloatMode: 240
; IeeeMode: 1
; LDSByteSize: 0 bytes/workgroup (compile time only)
; SGPRBlocks: 3
; VGPRBlocks: 3
; NumSGPRsForWavesPerEU: 28
; NumVGPRsForWavesPerEU: 16
; Occupancy: 10
; WaveLimiterHint : 0
; COMPUTE_PGM_RSRC2:SCRATCH_EN: 0
; COMPUTE_PGM_RSRC2:USER_SGPR: 6
; COMPUTE_PGM_RSRC2:TRAP_HANDLER: 0
; COMPUTE_PGM_RSRC2:TGID_X_EN: 1
; COMPUTE_PGM_RSRC2:TGID_Y_EN: 0
; COMPUTE_PGM_RSRC2:TGID_Z_EN: 0
; COMPUTE_PGM_RSRC2:TIDIG_COMP_CNT: 0
	.text
	.protected	_Z6Match2PKfS0_PfPi     ; -- Begin function _Z6Match2PKfS0_PfPi
	.globl	_Z6Match2PKfS0_PfPi
	.p2align	8
	.type	_Z6Match2PKfS0_PfPi,@function
_Z6Match2PKfS0_PfPi:                    ; @_Z6Match2PKfS0_PfPi
; %bb.0:
	s_movk_i32 s2, 0x7f
	v_cmp_lt_u32_e32 vcc, 15, v1
	s_movk_i32 s0, 0x80
	v_cmp_lt_u32_e64 s[2:3], s2, v0
	v_cmp_gt_u32_e64 s[0:1], s0, v0
	s_or_b64 s[2:3], vcc, s[2:3]
	v_lshlrev_b32_e32 v4, 9, v1
                                        ; implicit-def: $vgpr2
	s_and_saveexec_b64 s[8:9], s[2:3]
	s_xor_b64 s[2:3], exec, s[8:9]
; %bb.1:
	v_lshlrev_b32_e32 v4, 9, v1
	v_lshl_add_u32 v2, v0, 2, v4
; %bb.2:
	s_or_saveexec_b64 s[2:3], s[2:3]
	s_load_dwordx4 s[8:11], s[4:5], 0x8
	s_load_dwordx2 s[12:13], s[4:5], 0x18
	s_lshl_b32 s14, s6, 4
	s_xor_b64 exec, exec, s[2:3]
	s_cbranch_execz .LBB1_6
; %bb.3:
	s_load_dwordx2 s[4:5], s[4:5], 0x0
	v_or_b32_e32 v3, s14, v1
	v_lshl_add_u32 v2, v0, 2, v4
	s_mov_b64 s[6:7], 0
	v_lshlrev_b32_e32 v3, 7, v3
	s_waitcnt lgkmcnt(0)
	v_mov_b32_e32 v5, s5
	s_movk_i32 s5, 0x6f
	v_mov_b32_e32 v6, v2
	v_mov_b32_e32 v7, v0
.LBB1_4:                                ; =>This Inner Loop Header: Depth=1
	v_add_u32_e32 v8, v3, v7
	v_ashrrev_i32_e32 v9, 31, v8
	v_lshlrev_b64 v[8:9], 2, v[8:9]
	v_add_co_u32_e32 v8, vcc, s4, v8
	v_addc_co_u32_e32 v9, vcc, v5, v9, vcc
	global_load_dword v8, v[8:9], off
	v_add_u32_e32 v9, 16, v7
	v_cmp_lt_u32_e32 vcc, s5, v7
	s_or_b64 s[6:7], vcc, s[6:7]
	v_mov_b32_e32 v7, v9
	s_waitcnt vmcnt(0)
	ds_write_b32 v6, v8
	v_add_u32_e32 v6, 64, v6
	s_andn2_b64 exec, exec, s[6:7]
	s_cbranch_execnz .LBB1_4
; %bb.5:
	s_or_b64 exec, exec, s[6:7]
.LBB1_6:
	s_or_b64 exec, exec, s[2:3]
	v_mov_b32_e32 v3, 0x4000
	v_lshl_add_u32 v6, v0, 2, v3
	v_add_u32_e32 v7, 0x2000, v2
	v_lshl_add_u32 v2, v1, 7, v0
	v_mov_b32_e32 v3, 0
	v_lshlrev_b32_e32 v5, 6, v1
	v_cmp_eq_u32_e64 s[2:3], 0, v1
	v_lshlrev_b64 v[1:2], 2, v[2:3]
	s_waitcnt lgkmcnt(0)
	v_mov_b32_e32 v8, s9
	v_add_co_u32_e32 v1, vcc, s8, v1
	s_mov_b32 s15, 0
	v_addc_co_u32_e32 v2, vcc, v8, v2, vcc
	v_add_u32_e32 v8, 0x2000, v4
	v_mov_b32_e32 v10, -1
	s_movk_i32 s8, 0x6f
	v_add_u32_e32 v9, v6, v5
	s_barrier
	s_and_saveexec_b64 s[4:5], s[0:1]
	s_cbranch_execz .LBB1_9
.LBB1_7:
	v_mov_b32_e32 v5, v2
	s_mov_b64 s[6:7], 0
	v_mov_b32_e32 v4, v1
	v_mov_b32_e32 v11, v7
	v_add_u32_e32 v12, -16, v0
.LBB1_8:                                ; =>This Inner Loop Header: Depth=1
	global_load_dword v13, v[4:5], off
	v_add_co_u32_e32 v4, vcc, 64, v4
	v_add_u32_e32 v12, 16, v12
	v_addc_co_u32_e32 v5, vcc, 0, v5, vcc
	v_cmp_lt_u32_e32 vcc, s8, v12
	s_or_b64 s[6:7], vcc, s[6:7]
	s_waitcnt vmcnt(0)
	ds_write_b32 v11, v13
	v_add_u32_e32 v11, 64, v11
	s_andn2_b64 exec, exec, s[6:7]
	s_cbranch_execnz .LBB1_8
.LBB1_9:                                ; =>This Loop Header: Depth=1
                                        ;     Child Loop BB1_10 Depth 2
	s_or_b64 exec, exec, s[4:5]
	v_mov_b32_e32 v4, 0
	s_mov_b32 s4, 0
	s_waitcnt lgkmcnt(0)
	s_barrier
.LBB1_10:                               ;   Parent Loop BB1_9 Depth=1
                                        ; =>  This Inner Loop Header: Depth=2
	v_lshlrev_b32_e32 v5, 9, v0
	v_add_u32_e32 v31, s4, v8
	v_add_u32_e32 v5, s4, v5
	ds_read_b128 v[11:14], v31
	ds_read_b128 v[15:18], v5
	ds_read_b128 v[19:22], v5 offset:16
	ds_read_b128 v[23:26], v5 offset:32
	;; [unrolled: 1-line block ×3, first 2 shown]
	s_add_i32 s4, s4, 64
	s_waitcnt lgkmcnt(3)
	v_fmac_f32_e32 v4, v15, v11
	v_fmac_f32_e32 v4, v16, v12
	;; [unrolled: 1-line block ×4, first 2 shown]
	ds_read_b128 v[11:14], v5 offset:48
	ds_read_b128 v[15:18], v31 offset:32
	s_waitcnt lgkmcnt(2)
	v_fmac_f32_e32 v4, v19, v27
	v_fmac_f32_e32 v4, v20, v28
	v_fmac_f32_e32 v4, v21, v29
	v_fmac_f32_e32 v4, v22, v30
	ds_read_b128 v[19:22], v31 offset:48
	s_waitcnt lgkmcnt(1)
	v_fmac_f32_e32 v4, v23, v15
	v_fmac_f32_e32 v4, v24, v16
	;; [unrolled: 1-line block ×4, first 2 shown]
	s_waitcnt lgkmcnt(0)
	v_fmac_f32_e32 v4, v11, v19
	v_fmac_f32_e32 v4, v12, v20
	;; [unrolled: 1-line block ×3, first 2 shown]
	s_cmpk_eq_i32 s4, 0x200
	v_fmac_f32_e32 v4, v14, v22
	s_cbranch_scc0 .LBB1_10
; %bb.11:                               ;   in Loop: Header=BB1_9 Depth=1
	ds_write_b32 v9, v4
	s_waitcnt lgkmcnt(0)
	s_barrier
	s_and_saveexec_b64 s[4:5], s[2:3]
	s_cbranch_execz .LBB1_13
; %bb.12:                               ;   in Loop: Header=BB1_9 Depth=1
	ds_read2_b32 v[4:5], v6 offset1:16
	ds_read2_b32 v[11:12], v6 offset0:32 offset1:48
	v_mov_b32_e32 v13, s15
	s_or_b32 s6, s15, 1
	s_waitcnt lgkmcnt(1)
	v_cmp_gt_f32_e32 vcc, v4, v3
	v_cndmask_b32_e32 v3, v3, v4, vcc
	v_cndmask_b32_e32 v4, v10, v13, vcc
	v_cmp_gt_f32_e32 vcc, v5, v3
	v_cndmask_b32_e32 v3, v3, v5, vcc
	v_mov_b32_e32 v5, s6
	v_cndmask_b32_e32 v4, v4, v5, vcc
	s_or_b32 s6, s15, 2
	s_waitcnt lgkmcnt(0)
	v_cmp_gt_f32_e32 vcc, v11, v3
	v_cndmask_b32_e32 v5, v3, v11, vcc
	v_mov_b32_e32 v3, s6
	v_cndmask_b32_e32 v10, v4, v3, vcc
	ds_read2_b32 v[3:4], v6 offset0:64 offset1:80
	s_or_b32 s6, s15, 3
	v_cmp_gt_f32_e32 vcc, v12, v5
	v_cndmask_b32_e32 v5, v5, v12, vcc
	v_mov_b32_e32 v11, s6
	v_cndmask_b32_e32 v10, v10, v11, vcc
	s_or_b32 s6, s15, 4
	s_waitcnt lgkmcnt(0)
	v_cmp_gt_f32_e32 vcc, v3, v5
	v_cndmask_b32_e32 v3, v5, v3, vcc
	v_mov_b32_e32 v5, s6
	v_cndmask_b32_e32 v5, v10, v5, vcc
	ds_read2_b32 v[10:11], v6 offset0:96 offset1:112
	s_or_b32 s6, s15, 5
	;; [unrolled: 12-line block ×6, first 2 shown]
	v_cmp_gt_f32_e32 vcc, v4, v3
	v_cndmask_b32_e32 v3, v3, v4, vcc
	v_mov_b32_e32 v4, s6
	v_cndmask_b32_e32 v4, v5, v4, vcc
	s_or_b32 s6, s15, 14
	s_waitcnt lgkmcnt(0)
	v_cmp_gt_f32_e32 vcc, v10, v3
	v_cndmask_b32_e32 v3, v3, v10, vcc
	v_mov_b32_e32 v5, s6
	s_or_b32 s6, s15, 15
	v_cndmask_b32_e32 v4, v4, v5, vcc
	v_cmp_gt_f32_e32 vcc, v11, v3
	v_mov_b32_e32 v5, s6
	v_cndmask_b32_e32 v3, v3, v11, vcc
	v_cndmask_b32_e32 v10, v4, v5, vcc
.LBB1_13:                               ;   in Loop: Header=BB1_9 Depth=1
	s_or_b64 exec, exec, s[4:5]
	s_add_i32 s4, s15, 16
	v_add_co_u32_e32 v1, vcc, 0x2000, v1
	s_cmpk_gt_u32 s15, 0x3fef
	v_addc_co_u32_e32 v2, vcc, 0, v2, vcc
	s_barrier
	s_cbranch_scc1 .LBB1_15
; %bb.14:                               ;   in Loop: Header=BB1_9 Depth=1
	s_mov_b32 s15, s4
	s_and_saveexec_b64 s[4:5], s[0:1]
	s_cbranch_execnz .LBB1_7
	s_branch .LBB1_9
.LBB1_15:
	s_and_saveexec_b64 s[0:1], s[2:3]
	s_cbranch_execz .LBB1_17
; %bb.16:
	v_add_u32_e32 v0, s14, v0
	v_ashrrev_i32_e32 v1, 31, v0
	v_lshlrev_b64 v[0:1], 2, v[0:1]
	v_mov_b32_e32 v2, s13
	v_add_co_u32_e32 v4, vcc, s12, v0
	v_addc_co_u32_e32 v5, vcc, v2, v1, vcc
	v_mov_b32_e32 v2, s11
	v_add_co_u32_e32 v0, vcc, s10, v0
	v_addc_co_u32_e32 v1, vcc, v2, v1, vcc
	global_store_dword v[0:1], v3, off
	global_store_dword v[4:5], v10, off
.LBB1_17:
	s_endpgm
	.section	.rodata,"a",@progbits
	.p2align	6, 0x0
	.amdhsa_kernel _Z6Match2PKfS0_PfPi
		.amdhsa_group_segment_fixed_size 17408
		.amdhsa_private_segment_fixed_size 0
		.amdhsa_kernarg_size 32
		.amdhsa_user_sgpr_count 6
		.amdhsa_user_sgpr_private_segment_buffer 1
		.amdhsa_user_sgpr_dispatch_ptr 0
		.amdhsa_user_sgpr_queue_ptr 0
		.amdhsa_user_sgpr_kernarg_segment_ptr 1
		.amdhsa_user_sgpr_dispatch_id 0
		.amdhsa_user_sgpr_flat_scratch_init 0
		.amdhsa_user_sgpr_private_segment_size 0
		.amdhsa_uses_dynamic_stack 0
		.amdhsa_system_sgpr_private_segment_wavefront_offset 0
		.amdhsa_system_sgpr_workgroup_id_x 1
		.amdhsa_system_sgpr_workgroup_id_y 0
		.amdhsa_system_sgpr_workgroup_id_z 0
		.amdhsa_system_sgpr_workgroup_info 0
		.amdhsa_system_vgpr_workitem_id 1
		.amdhsa_next_free_vgpr 32
		.amdhsa_next_free_sgpr 61
		.amdhsa_reserve_vcc 1
		.amdhsa_reserve_flat_scratch 0
		.amdhsa_float_round_mode_32 0
		.amdhsa_float_round_mode_16_64 0
		.amdhsa_float_denorm_mode_32 3
		.amdhsa_float_denorm_mode_16_64 3
		.amdhsa_dx10_clamp 1
		.amdhsa_ieee_mode 1
		.amdhsa_fp16_overflow 0
		.amdhsa_exception_fp_ieee_invalid_op 0
		.amdhsa_exception_fp_denorm_src 0
		.amdhsa_exception_fp_ieee_div_zero 0
		.amdhsa_exception_fp_ieee_overflow 0
		.amdhsa_exception_fp_ieee_underflow 0
		.amdhsa_exception_fp_ieee_inexact 0
		.amdhsa_exception_int_div_zero 0
	.end_amdhsa_kernel
	.text
.Lfunc_end1:
	.size	_Z6Match2PKfS0_PfPi, .Lfunc_end1-_Z6Match2PKfS0_PfPi
                                        ; -- End function
	.set _Z6Match2PKfS0_PfPi.num_vgpr, 32
	.set _Z6Match2PKfS0_PfPi.num_agpr, 0
	.set _Z6Match2PKfS0_PfPi.numbered_sgpr, 16
	.set _Z6Match2PKfS0_PfPi.num_named_barrier, 0
	.set _Z6Match2PKfS0_PfPi.private_seg_size, 0
	.set _Z6Match2PKfS0_PfPi.uses_vcc, 1
	.set _Z6Match2PKfS0_PfPi.uses_flat_scratch, 0
	.set _Z6Match2PKfS0_PfPi.has_dyn_sized_stack, 0
	.set _Z6Match2PKfS0_PfPi.has_recursion, 0
	.set _Z6Match2PKfS0_PfPi.has_indirect_call, 0
	.section	.AMDGPU.csdata,"",@progbits
; Kernel info:
; codeLenInByte = 1136
; TotalNumSgprs: 20
; NumVgprs: 32
; ScratchSize: 0
; MemoryBound: 0
; FloatMode: 240
; IeeeMode: 1
; LDSByteSize: 17408 bytes/workgroup (compile time only)
; SGPRBlocks: 8
; VGPRBlocks: 7
; NumSGPRsForWavesPerEU: 65
; NumVGPRsForWavesPerEU: 32
; Occupancy: 8
; WaveLimiterHint : 0
; COMPUTE_PGM_RSRC2:SCRATCH_EN: 0
; COMPUTE_PGM_RSRC2:USER_SGPR: 6
; COMPUTE_PGM_RSRC2:TRAP_HANDLER: 0
; COMPUTE_PGM_RSRC2:TGID_X_EN: 1
; COMPUTE_PGM_RSRC2:TGID_Y_EN: 0
; COMPUTE_PGM_RSRC2:TGID_Z_EN: 0
; COMPUTE_PGM_RSRC2:TIDIG_COMP_CNT: 1
	.text
	.protected	_Z6Match3PKfS0_PfPi     ; -- Begin function _Z6Match3PKfS0_PfPi
	.globl	_Z6Match3PKfS0_PfPi
	.p2align	8
	.type	_Z6Match3PKfS0_PfPi,@function
_Z6Match3PKfS0_PfPi:                    ; @_Z6Match3PKfS0_PfPi
; %bb.0:
	s_movk_i32 s2, 0x7f
	v_cmp_lt_u32_e32 vcc, 15, v1
	s_movk_i32 s0, 0x80
	v_cmp_lt_u32_e64 s[2:3], s2, v0
	v_cmp_gt_u32_e64 s[0:1], s0, v0
	s_or_b64 s[2:3], vcc, s[2:3]
	v_lshlrev_b32_e32 v2, 2, v0
	s_and_saveexec_b64 s[8:9], s[2:3]
	s_xor_b64 s[2:3], exec, s[8:9]
; %bb.1:
	v_lshlrev_b32_e32 v2, 2, v0
; %bb.2:
	s_or_saveexec_b64 s[2:3], s[2:3]
	s_load_dwordx4 s[8:11], s[4:5], 0x8
	s_load_dwordx2 s[12:13], s[4:5], 0x18
	s_lshl_b32 s14, s6, 4
	s_xor_b64 exec, exec, s[2:3]
	s_cbranch_execz .LBB2_6
; %bb.3:
	s_load_dwordx2 s[4:5], s[4:5], 0x0
	v_or_b32_e32 v3, s14, v1
	s_movk_i32 s6, 0x204
	v_lshlrev_b32_e32 v3, 7, v3
	v_mad_u32_u24 v4, v1, s6, v2
	s_mov_b64 s[6:7], 0
	s_waitcnt lgkmcnt(0)
	v_mov_b32_e32 v5, s5
	s_movk_i32 s5, 0x6f
	v_mov_b32_e32 v6, v0
.LBB2_4:                                ; =>This Inner Loop Header: Depth=1
	v_add_u32_e32 v7, v3, v6
	v_ashrrev_i32_e32 v8, 31, v7
	v_lshlrev_b64 v[7:8], 2, v[7:8]
	v_add_co_u32_e32 v7, vcc, s4, v7
	v_addc_co_u32_e32 v8, vcc, v5, v8, vcc
	global_load_dword v7, v[7:8], off
	v_add_u32_e32 v8, 16, v6
	v_cmp_lt_u32_e32 vcc, s5, v6
	s_or_b64 s[6:7], vcc, s[6:7]
	v_mov_b32_e32 v6, v8
	s_waitcnt vmcnt(0)
	ds_write_b32 v4, v7
	v_add_u32_e32 v4, 64, v4
	s_andn2_b64 exec, exec, s[6:7]
	s_cbranch_execnz .LBB2_4
; %bb.5:
	s_or_b64 exec, exec, s[6:7]
.LBB2_6:
	s_or_b64 exec, exec, s[2:3]
	v_mov_b32_e32 v3, 0x4040
	v_lshl_add_u32 v7, v0, 2, v3
	v_mov_b32_e32 v3, 0x2040
	v_lshl_add_u32 v9, v1, 9, v3
	v_add_u32_e32 v10, v9, v2
	v_lshl_add_u32 v2, v1, 7, v0
	v_mov_b32_e32 v3, 0
	v_lshlrev_b32_e32 v4, 6, v1
	v_cmp_eq_u32_e64 s[2:3], 0, v1
	v_lshlrev_b64 v[1:2], 2, v[2:3]
	s_waitcnt lgkmcnt(0)
	v_mov_b32_e32 v5, s9
	v_add_co_u32_e32 v1, vcc, s8, v1
	v_mul_u32_u24_e32 v6, 0x204, v0
	s_mov_b32 s15, 0
	v_add_u32_e32 v8, -16, v0
	v_addc_co_u32_e32 v2, vcc, v5, v2, vcc
	v_mov_b32_e32 v12, -1
	s_movk_i32 s8, 0x6f
	v_add_u32_e32 v11, v7, v4
	s_barrier
	s_and_saveexec_b64 s[4:5], s[0:1]
	s_cbranch_execz .LBB2_9
.LBB2_7:
	v_mov_b32_e32 v5, v2
	s_mov_b64 s[6:7], 0
	v_mov_b32_e32 v4, v1
	v_mov_b32_e32 v13, v10
	;; [unrolled: 1-line block ×3, first 2 shown]
.LBB2_8:                                ; =>This Inner Loop Header: Depth=1
	global_load_dword v15, v[4:5], off
	v_add_co_u32_e32 v4, vcc, 64, v4
	v_add_u32_e32 v14, 16, v14
	v_addc_co_u32_e32 v5, vcc, 0, v5, vcc
	v_cmp_lt_u32_e32 vcc, s8, v14
	s_or_b64 s[6:7], vcc, s[6:7]
	s_waitcnt vmcnt(0)
	ds_write_b32 v13, v15
	v_add_u32_e32 v13, 64, v13
	s_andn2_b64 exec, exec, s[6:7]
	s_cbranch_execnz .LBB2_8
.LBB2_9:                                ; =>This Loop Header: Depth=1
                                        ;     Child Loop BB2_10 Depth 2
	s_or_b64 exec, exec, s[4:5]
	v_mov_b32_e32 v4, 0
	s_mov_b32 s4, 0
	s_waitcnt lgkmcnt(0)
	s_barrier
.LBB2_10:                               ;   Parent Loop BB2_9 Depth=1
                                        ; =>  This Inner Loop Header: Depth=2
	v_add_u32_e32 v5, s4, v6
	ds_read2_b32 v[29:30], v5 offset1:1
	v_add_u32_e32 v25, s4, v9
	ds_read_b128 v[13:16], v25
	ds_read_b128 v[17:20], v25 offset:16
	ds_read_b128 v[21:24], v25 offset:32
	;; [unrolled: 1-line block ×3, first 2 shown]
	s_add_i32 s4, s4, 64
	s_cmpk_eq_i32 s4, 0x200
	s_waitcnt lgkmcnt(3)
	v_fmac_f32_e32 v4, v29, v13
	v_fmac_f32_e32 v4, v30, v14
	ds_read2_b32 v[13:14], v5 offset0:2 offset1:3
	s_waitcnt lgkmcnt(0)
	v_fmac_f32_e32 v4, v13, v15
	v_fmac_f32_e32 v4, v14, v16
	ds_read2_b32 v[13:14], v5 offset0:4 offset1:5
	;; [unrolled: 4-line block ×7, first 2 shown]
	s_waitcnt lgkmcnt(0)
	v_fmac_f32_e32 v4, v13, v27
	v_fmac_f32_e32 v4, v14, v28
	s_cbranch_scc0 .LBB2_10
; %bb.11:                               ;   in Loop: Header=BB2_9 Depth=1
	ds_write_b32 v11, v4
	s_waitcnt lgkmcnt(0)
	s_barrier
	s_and_saveexec_b64 s[4:5], s[2:3]
	s_cbranch_execz .LBB2_13
; %bb.12:                               ;   in Loop: Header=BB2_9 Depth=1
	ds_read2_b32 v[4:5], v7 offset1:16
	ds_read2_b32 v[13:14], v7 offset0:32 offset1:48
	v_mov_b32_e32 v15, s15
	s_or_b32 s6, s15, 1
	s_waitcnt lgkmcnt(1)
	v_cmp_gt_f32_e32 vcc, v4, v3
	v_cndmask_b32_e32 v3, v3, v4, vcc
	v_cndmask_b32_e32 v4, v12, v15, vcc
	v_cmp_gt_f32_e32 vcc, v5, v3
	v_cndmask_b32_e32 v3, v3, v5, vcc
	v_mov_b32_e32 v5, s6
	v_cndmask_b32_e32 v4, v4, v5, vcc
	s_or_b32 s6, s15, 2
	s_waitcnt lgkmcnt(0)
	v_cmp_gt_f32_e32 vcc, v13, v3
	v_cndmask_b32_e32 v5, v3, v13, vcc
	v_mov_b32_e32 v3, s6
	v_cndmask_b32_e32 v12, v4, v3, vcc
	ds_read2_b32 v[3:4], v7 offset0:64 offset1:80
	s_or_b32 s6, s15, 3
	v_cmp_gt_f32_e32 vcc, v14, v5
	v_cndmask_b32_e32 v5, v5, v14, vcc
	v_mov_b32_e32 v13, s6
	v_cndmask_b32_e32 v12, v12, v13, vcc
	s_or_b32 s6, s15, 4
	s_waitcnt lgkmcnt(0)
	v_cmp_gt_f32_e32 vcc, v3, v5
	v_cndmask_b32_e32 v3, v5, v3, vcc
	v_mov_b32_e32 v5, s6
	v_cndmask_b32_e32 v5, v12, v5, vcc
	ds_read2_b32 v[12:13], v7 offset0:96 offset1:112
	s_or_b32 s6, s15, 5
	;; [unrolled: 12-line block ×6, first 2 shown]
	v_cmp_gt_f32_e32 vcc, v4, v3
	v_cndmask_b32_e32 v3, v3, v4, vcc
	v_mov_b32_e32 v4, s6
	v_cndmask_b32_e32 v4, v5, v4, vcc
	s_or_b32 s6, s15, 14
	s_waitcnt lgkmcnt(0)
	v_cmp_gt_f32_e32 vcc, v12, v3
	v_cndmask_b32_e32 v3, v3, v12, vcc
	v_mov_b32_e32 v5, s6
	s_or_b32 s6, s15, 15
	v_cndmask_b32_e32 v4, v4, v5, vcc
	v_cmp_gt_f32_e32 vcc, v13, v3
	v_mov_b32_e32 v5, s6
	v_cndmask_b32_e32 v3, v3, v13, vcc
	v_cndmask_b32_e32 v12, v4, v5, vcc
.LBB2_13:                               ;   in Loop: Header=BB2_9 Depth=1
	s_or_b64 exec, exec, s[4:5]
	s_add_i32 s4, s15, 16
	v_add_co_u32_e32 v1, vcc, 0x2000, v1
	s_cmpk_gt_u32 s15, 0x3fef
	v_addc_co_u32_e32 v2, vcc, 0, v2, vcc
	s_barrier
	s_cbranch_scc1 .LBB2_15
; %bb.14:                               ;   in Loop: Header=BB2_9 Depth=1
	s_mov_b32 s15, s4
	s_and_saveexec_b64 s[4:5], s[0:1]
	s_cbranch_execnz .LBB2_7
	s_branch .LBB2_9
.LBB2_15:
	s_and_saveexec_b64 s[0:1], s[2:3]
	s_cbranch_execz .LBB2_17
; %bb.16:
	v_add_u32_e32 v0, s14, v0
	v_ashrrev_i32_e32 v1, 31, v0
	v_lshlrev_b64 v[0:1], 2, v[0:1]
	v_mov_b32_e32 v2, s13
	v_add_co_u32_e32 v4, vcc, s12, v0
	v_addc_co_u32_e32 v5, vcc, v2, v1, vcc
	v_mov_b32_e32 v2, s11
	v_add_co_u32_e32 v0, vcc, s10, v0
	v_addc_co_u32_e32 v1, vcc, v2, v1, vcc
	global_store_dword v[0:1], v3, off
	global_store_dword v[4:5], v12, off
.LBB2_17:
	s_endpgm
	.section	.rodata,"a",@progbits
	.p2align	6, 0x0
	.amdhsa_kernel _Z6Match3PKfS0_PfPi
		.amdhsa_group_segment_fixed_size 17472
		.amdhsa_private_segment_fixed_size 0
		.amdhsa_kernarg_size 32
		.amdhsa_user_sgpr_count 6
		.amdhsa_user_sgpr_private_segment_buffer 1
		.amdhsa_user_sgpr_dispatch_ptr 0
		.amdhsa_user_sgpr_queue_ptr 0
		.amdhsa_user_sgpr_kernarg_segment_ptr 1
		.amdhsa_user_sgpr_dispatch_id 0
		.amdhsa_user_sgpr_flat_scratch_init 0
		.amdhsa_user_sgpr_private_segment_size 0
		.amdhsa_uses_dynamic_stack 0
		.amdhsa_system_sgpr_private_segment_wavefront_offset 0
		.amdhsa_system_sgpr_workgroup_id_x 1
		.amdhsa_system_sgpr_workgroup_id_y 0
		.amdhsa_system_sgpr_workgroup_id_z 0
		.amdhsa_system_sgpr_workgroup_info 0
		.amdhsa_system_vgpr_workitem_id 1
		.amdhsa_next_free_vgpr 31
		.amdhsa_next_free_sgpr 61
		.amdhsa_reserve_vcc 1
		.amdhsa_reserve_flat_scratch 0
		.amdhsa_float_round_mode_32 0
		.amdhsa_float_round_mode_16_64 0
		.amdhsa_float_denorm_mode_32 3
		.amdhsa_float_denorm_mode_16_64 3
		.amdhsa_dx10_clamp 1
		.amdhsa_ieee_mode 1
		.amdhsa_fp16_overflow 0
		.amdhsa_exception_fp_ieee_invalid_op 0
		.amdhsa_exception_fp_denorm_src 0
		.amdhsa_exception_fp_ieee_div_zero 0
		.amdhsa_exception_fp_ieee_overflow 0
		.amdhsa_exception_fp_ieee_underflow 0
		.amdhsa_exception_fp_ieee_inexact 0
		.amdhsa_exception_int_div_zero 0
	.end_amdhsa_kernel
	.text
.Lfunc_end2:
	.size	_Z6Match3PKfS0_PfPi, .Lfunc_end2-_Z6Match3PKfS0_PfPi
                                        ; -- End function
	.set _Z6Match3PKfS0_PfPi.num_vgpr, 31
	.set _Z6Match3PKfS0_PfPi.num_agpr, 0
	.set _Z6Match3PKfS0_PfPi.numbered_sgpr, 16
	.set _Z6Match3PKfS0_PfPi.num_named_barrier, 0
	.set _Z6Match3PKfS0_PfPi.private_seg_size, 0
	.set _Z6Match3PKfS0_PfPi.uses_vcc, 1
	.set _Z6Match3PKfS0_PfPi.uses_flat_scratch, 0
	.set _Z6Match3PKfS0_PfPi.has_dyn_sized_stack, 0
	.set _Z6Match3PKfS0_PfPi.has_recursion, 0
	.set _Z6Match3PKfS0_PfPi.has_indirect_call, 0
	.section	.AMDGPU.csdata,"",@progbits
; Kernel info:
; codeLenInByte = 1188
; TotalNumSgprs: 20
; NumVgprs: 31
; ScratchSize: 0
; MemoryBound: 0
; FloatMode: 240
; IeeeMode: 1
; LDSByteSize: 17472 bytes/workgroup (compile time only)
; SGPRBlocks: 8
; VGPRBlocks: 7
; NumSGPRsForWavesPerEU: 65
; NumVGPRsForWavesPerEU: 31
; Occupancy: 8
; WaveLimiterHint : 0
; COMPUTE_PGM_RSRC2:SCRATCH_EN: 0
; COMPUTE_PGM_RSRC2:USER_SGPR: 6
; COMPUTE_PGM_RSRC2:TRAP_HANDLER: 0
; COMPUTE_PGM_RSRC2:TGID_X_EN: 1
; COMPUTE_PGM_RSRC2:TGID_Y_EN: 0
; COMPUTE_PGM_RSRC2:TGID_Z_EN: 0
; COMPUTE_PGM_RSRC2:TIDIG_COMP_CNT: 1
	.text
	.protected	_Z6Match4PKfS0_PfPi     ; -- Begin function _Z6Match4PKfS0_PfPi
	.globl	_Z6Match4PKfS0_PfPi
	.p2align	8
	.type	_Z6Match4PKfS0_PfPi,@function
_Z6Match4PKfS0_PfPi:                    ; @_Z6Match4PKfS0_PfPi
; %bb.0:
	v_cmp_lt_u32_e32 vcc, 15, v1
	v_cmp_lt_u32_e64 s[2:3], 31, v0
	v_cmp_gt_u32_e64 s[0:1], 32, v0
	s_or_b64 s[2:3], vcc, s[2:3]
	v_lshlrev_b32_e32 v2, 4, v0
	s_and_saveexec_b64 s[8:9], s[2:3]
	s_xor_b64 s[2:3], exec, s[8:9]
; %bb.1:
	v_lshlrev_b32_e32 v2, 4, v0
; %bb.2:
	s_or_saveexec_b64 s[2:3], s[2:3]
	s_load_dwordx4 s[8:11], s[4:5], 0x8
	s_load_dwordx2 s[12:13], s[4:5], 0x18
	s_lshl_b32 s14, s6, 4
	s_xor_b64 exec, exec, s[2:3]
	s_cbranch_execz .LBB3_6
; %bb.3:
	s_load_dwordx2 s[4:5], s[4:5], 0x0
	v_or_b32_e32 v3, s14, v1
	s_movk_i32 s6, 0x210
	v_lshlrev_b32_e32 v3, 5, v3
	v_mad_u32_u24 v4, v1, s6, v2
	s_mov_b64 s[6:7], 0
	s_waitcnt lgkmcnt(0)
	v_mov_b32_e32 v5, s5
	v_mov_b32_e32 v6, v0
.LBB3_4:                                ; =>This Inner Loop Header: Depth=1
	v_add_u32_e32 v7, v3, v6
	v_ashrrev_i32_e32 v8, 31, v7
	v_lshlrev_b64 v[7:8], 4, v[7:8]
	v_add_u32_e32 v11, 16, v6
	v_add_co_u32_e32 v7, vcc, s4, v7
	v_addc_co_u32_e32 v8, vcc, v5, v8, vcc
	global_load_dwordx4 v[7:10], v[7:8], off
	v_cmp_lt_u32_e32 vcc, 15, v6
	s_or_b64 s[6:7], vcc, s[6:7]
	v_mov_b32_e32 v6, v11
	s_waitcnt vmcnt(0)
	ds_write_b128 v4, v[7:10]
	v_add_u32_e32 v4, 0x100, v4
	s_andn2_b64 exec, exec, s[6:7]
	s_cbranch_execnz .LBB3_4
; %bb.5:
	s_or_b64 exec, exec, s[6:7]
.LBB3_6:
	s_or_b64 exec, exec, s[2:3]
	v_lshlrev_b32_e32 v3, 9, v1
	s_movk_i32 s4, 0x2100
	v_add_u32_e32 v7, 0x2100, v3
	v_mov_b32_e32 v4, 0x4100
	v_add3_u32 v10, v3, v2, s4
	v_lshl_add_u32 v2, v1, 5, v0
	v_mov_b32_e32 v3, 0
	v_lshl_add_u32 v8, v0, 2, v4
	v_lshlrev_b32_e32 v4, 6, v1
	v_cmp_eq_u32_e64 s[2:3], 0, v1
	v_lshlrev_b64 v[1:2], 4, v[2:3]
	s_waitcnt lgkmcnt(0)
	v_mov_b32_e32 v5, s9
	v_add_co_u32_e32 v1, vcc, s8, v1
	v_mul_u32_u24_e32 v6, 0x210, v0
	s_mov_b32 s15, 0
	v_add_u32_e32 v9, -16, v0
	v_addc_co_u32_e32 v2, vcc, v5, v2, vcc
	v_mov_b32_e32 v12, -1
	v_add_u32_e32 v11, v8, v4
	s_barrier
	s_and_saveexec_b64 s[6:7], s[0:1]
	s_cbranch_execz .LBB3_9
.LBB3_7:
	v_mov_b32_e32 v5, v2
	s_mov_b64 s[8:9], 0
	v_mov_b32_e32 v4, v1
	v_mov_b32_e32 v13, v10
	;; [unrolled: 1-line block ×3, first 2 shown]
.LBB3_8:                                ; =>This Inner Loop Header: Depth=1
	global_load_dwordx4 v[15:18], v[4:5], off
	v_add_co_u32_e64 v14, s[4:5], 16, v14
	s_xor_b64 s[4:5], s[4:5], -1
	v_add_co_u32_e32 v4, vcc, 0x100, v4
	s_and_b64 s[4:5], exec, s[4:5]
	v_addc_co_u32_e32 v5, vcc, 0, v5, vcc
	s_or_b64 s[8:9], s[4:5], s[8:9]
	s_waitcnt vmcnt(0)
	ds_write_b128 v13, v[15:18]
	v_add_u32_e32 v13, 0x100, v13
	s_andn2_b64 exec, exec, s[8:9]
	s_cbranch_execnz .LBB3_8
.LBB3_9:                                ; =>This Inner Loop Header: Depth=1
	s_or_b64 exec, exec, s[6:7]
	s_waitcnt lgkmcnt(0)
	s_barrier
	ds_read_b128 v[13:16], v7
	ds_read_b128 v[17:20], v6
	ds_read_b128 v[21:24], v6 offset:16
	ds_read_b128 v[25:28], v7 offset:16
	s_waitcnt lgkmcnt(2)
	v_fma_f32 v4, v17, v13, 0
	v_fmac_f32_e32 v4, v18, v14
	v_fmac_f32_e32 v4, v19, v15
	v_fmac_f32_e32 v4, v20, v16
	ds_read_b128 v[13:16], v6 offset:32
	ds_read_b128 v[17:20], v7 offset:32
	s_waitcnt lgkmcnt(2)
	v_fmac_f32_e32 v4, v21, v25
	v_fmac_f32_e32 v4, v22, v26
	v_fmac_f32_e32 v4, v23, v27
	v_fmac_f32_e32 v4, v24, v28
	ds_read_b128 v[21:24], v6 offset:48
	ds_read_b128 v[25:28], v7 offset:48
	s_waitcnt lgkmcnt(2)
	v_fmac_f32_e32 v4, v13, v17
	;; [unrolled: 7-line block ×30, first 2 shown]
	v_fmac_f32_e32 v4, v14, v18
	v_fmac_f32_e32 v4, v15, v19
	;; [unrolled: 1-line block ×3, first 2 shown]
	s_waitcnt lgkmcnt(0)
	v_fmac_f32_e32 v4, v21, v25
	v_fmac_f32_e32 v4, v22, v26
	;; [unrolled: 1-line block ×4, first 2 shown]
	ds_write_b32 v11, v4
	s_waitcnt lgkmcnt(0)
	s_barrier
	s_and_saveexec_b64 s[4:5], s[2:3]
	s_cbranch_execz .LBB3_11
; %bb.10:                               ;   in Loop: Header=BB3_9 Depth=1
	ds_read2_b32 v[4:5], v8 offset1:16
	v_mov_b32_e32 v13, s15
	s_or_b32 s6, s15, 1
	v_mov_b32_e32 v14, s6
	s_or_b32 s6, s15, 2
	s_waitcnt lgkmcnt(0)
	v_cmp_gt_f32_e32 vcc, v4, v3
	v_cndmask_b32_e32 v12, v12, v13, vcc
	v_cndmask_b32_e32 v13, v3, v4, vcc
	ds_read2_b32 v[3:4], v8 offset0:32 offset1:48
	v_cmp_gt_f32_e32 vcc, v5, v13
	v_cndmask_b32_e32 v5, v13, v5, vcc
	v_cndmask_b32_e32 v12, v12, v14, vcc
	v_mov_b32_e32 v13, s6
	s_waitcnt lgkmcnt(0)
	v_cmp_gt_f32_e32 vcc, v3, v5
	v_cndmask_b32_e32 v14, v12, v13, vcc
	ds_read2_b32 v[12:13], v8 offset0:64 offset1:80
	v_cndmask_b32_e32 v3, v5, v3, vcc
	s_or_b32 s6, s15, 3
	v_cmp_gt_f32_e32 vcc, v4, v3
	v_mov_b32_e32 v5, s6
	v_cndmask_b32_e32 v3, v3, v4, vcc
	s_or_b32 s6, s15, 4
	v_cndmask_b32_e32 v5, v14, v5, vcc
	v_mov_b32_e32 v4, s6
	s_waitcnt lgkmcnt(0)
	v_cmp_gt_f32_e32 vcc, v12, v3
	v_cndmask_b32_e32 v5, v5, v4, vcc
	v_cndmask_b32_e32 v12, v3, v12, vcc
	ds_read2_b32 v[3:4], v8 offset0:96 offset1:112
	s_or_b32 s6, s15, 5
	v_cmp_gt_f32_e32 vcc, v13, v12
	v_mov_b32_e32 v14, s6
	v_cndmask_b32_e32 v12, v12, v13, vcc
	s_or_b32 s6, s15, 6
	v_cndmask_b32_e32 v5, v5, v14, vcc
	v_mov_b32_e32 v13, s6
	s_waitcnt lgkmcnt(0)
	v_cmp_gt_f32_e32 vcc, v3, v12
	v_cndmask_b32_e32 v5, v5, v13, vcc
	v_cndmask_b32_e32 v3, v12, v3, vcc
	ds_read2_b32 v[12:13], v8 offset0:128 offset1:144
	;; [unrolled: 12-line block ×5, first 2 shown]
	s_or_b32 s6, s15, 13
	v_cmp_gt_f32_e32 vcc, v13, v12
	v_mov_b32_e32 v14, s6
	v_cndmask_b32_e32 v12, v12, v13, vcc
	v_cndmask_b32_e32 v5, v5, v14, vcc
	s_or_b32 s6, s15, 14
	s_waitcnt lgkmcnt(0)
	v_cmp_gt_f32_e32 vcc, v3, v12
	v_mov_b32_e32 v13, s6
	v_cndmask_b32_e32 v3, v12, v3, vcc
	s_or_b32 s6, s15, 15
	v_cndmask_b32_e32 v5, v5, v13, vcc
	v_mov_b32_e32 v12, s6
	v_cmp_gt_f32_e32 vcc, v4, v3
	v_cndmask_b32_e32 v12, v5, v12, vcc
	v_cndmask_b32_e32 v3, v3, v4, vcc
.LBB3_11:                               ;   in Loop: Header=BB3_9 Depth=1
	s_or_b64 exec, exec, s[4:5]
	s_add_i32 s4, s15, 16
	v_add_co_u32_e32 v1, vcc, 0x2000, v1
	s_cmpk_gt_u32 s15, 0x3fef
	v_addc_co_u32_e32 v2, vcc, 0, v2, vcc
	s_barrier
	s_cbranch_scc1 .LBB3_13
; %bb.12:                               ;   in Loop: Header=BB3_9 Depth=1
	s_mov_b32 s15, s4
	s_and_saveexec_b64 s[6:7], s[0:1]
	s_cbranch_execnz .LBB3_7
	s_branch .LBB3_9
.LBB3_13:
	s_and_saveexec_b64 s[0:1], s[2:3]
	s_cbranch_execz .LBB3_15
; %bb.14:
	v_add_u32_e32 v0, s14, v0
	v_ashrrev_i32_e32 v1, 31, v0
	v_lshlrev_b64 v[0:1], 2, v[0:1]
	v_mov_b32_e32 v2, s13
	v_add_co_u32_e32 v4, vcc, s12, v0
	v_addc_co_u32_e32 v5, vcc, v2, v1, vcc
	v_mov_b32_e32 v2, s11
	v_add_co_u32_e32 v0, vcc, s10, v0
	v_addc_co_u32_e32 v1, vcc, v2, v1, vcc
	global_store_dword v[0:1], v3, off
	global_store_dword v[4:5], v12, off
.LBB3_15:
	s_endpgm
	.section	.rodata,"a",@progbits
	.p2align	6, 0x0
	.amdhsa_kernel _Z6Match4PKfS0_PfPi
		.amdhsa_group_segment_fixed_size 17664
		.amdhsa_private_segment_fixed_size 0
		.amdhsa_kernarg_size 32
		.amdhsa_user_sgpr_count 6
		.amdhsa_user_sgpr_private_segment_buffer 1
		.amdhsa_user_sgpr_dispatch_ptr 0
		.amdhsa_user_sgpr_queue_ptr 0
		.amdhsa_user_sgpr_kernarg_segment_ptr 1
		.amdhsa_user_sgpr_dispatch_id 0
		.amdhsa_user_sgpr_flat_scratch_init 0
		.amdhsa_user_sgpr_private_segment_size 0
		.amdhsa_uses_dynamic_stack 0
		.amdhsa_system_sgpr_private_segment_wavefront_offset 0
		.amdhsa_system_sgpr_workgroup_id_x 1
		.amdhsa_system_sgpr_workgroup_id_y 0
		.amdhsa_system_sgpr_workgroup_id_z 0
		.amdhsa_system_sgpr_workgroup_info 0
		.amdhsa_system_vgpr_workitem_id 1
		.amdhsa_next_free_vgpr 29
		.amdhsa_next_free_sgpr 61
		.amdhsa_reserve_vcc 1
		.amdhsa_reserve_flat_scratch 0
		.amdhsa_float_round_mode_32 0
		.amdhsa_float_round_mode_16_64 0
		.amdhsa_float_denorm_mode_32 3
		.amdhsa_float_denorm_mode_16_64 3
		.amdhsa_dx10_clamp 1
		.amdhsa_ieee_mode 1
		.amdhsa_fp16_overflow 0
		.amdhsa_exception_fp_ieee_invalid_op 0
		.amdhsa_exception_fp_denorm_src 0
		.amdhsa_exception_fp_ieee_div_zero 0
		.amdhsa_exception_fp_ieee_overflow 0
		.amdhsa_exception_fp_ieee_underflow 0
		.amdhsa_exception_fp_ieee_inexact 0
		.amdhsa_exception_int_div_zero 0
	.end_amdhsa_kernel
	.text
.Lfunc_end3:
	.size	_Z6Match4PKfS0_PfPi, .Lfunc_end3-_Z6Match4PKfS0_PfPi
                                        ; -- End function
	.set _Z6Match4PKfS0_PfPi.num_vgpr, 29
	.set _Z6Match4PKfS0_PfPi.num_agpr, 0
	.set _Z6Match4PKfS0_PfPi.numbered_sgpr, 16
	.set _Z6Match4PKfS0_PfPi.num_named_barrier, 0
	.set _Z6Match4PKfS0_PfPi.private_seg_size, 0
	.set _Z6Match4PKfS0_PfPi.uses_vcc, 1
	.set _Z6Match4PKfS0_PfPi.uses_flat_scratch, 0
	.set _Z6Match4PKfS0_PfPi.has_dyn_sized_stack, 0
	.set _Z6Match4PKfS0_PfPi.has_recursion, 0
	.set _Z6Match4PKfS0_PfPi.has_indirect_call, 0
	.section	.AMDGPU.csdata,"",@progbits
; Kernel info:
; codeLenInByte = 2132
; TotalNumSgprs: 20
; NumVgprs: 29
; ScratchSize: 0
; MemoryBound: 0
; FloatMode: 240
; IeeeMode: 1
; LDSByteSize: 17664 bytes/workgroup (compile time only)
; SGPRBlocks: 8
; VGPRBlocks: 7
; NumSGPRsForWavesPerEU: 65
; NumVGPRsForWavesPerEU: 29
; Occupancy: 8
; WaveLimiterHint : 0
; COMPUTE_PGM_RSRC2:SCRATCH_EN: 0
; COMPUTE_PGM_RSRC2:USER_SGPR: 6
; COMPUTE_PGM_RSRC2:TRAP_HANDLER: 0
; COMPUTE_PGM_RSRC2:TGID_X_EN: 1
; COMPUTE_PGM_RSRC2:TGID_Y_EN: 0
; COMPUTE_PGM_RSRC2:TGID_Z_EN: 0
; COMPUTE_PGM_RSRC2:TIDIG_COMP_CNT: 1
	.text
	.protected	_Z6Match5PKfS0_PfPi     ; -- Begin function _Z6Match5PKfS0_PfPi
	.globl	_Z6Match5PKfS0_PfPi
	.p2align	8
	.type	_Z6Match5PKfS0_PfPi,@function
_Z6Match5PKfS0_PfPi:                    ; @_Z6Match5PKfS0_PfPi
; %bb.0:
	v_cmp_lt_u32_e32 vcc, 15, v1
	v_cmp_lt_u32_e64 s[2:3], 31, v0
	v_cmp_gt_u32_e64 s[0:1], 32, v0
	s_or_b64 s[2:3], vcc, s[2:3]
	v_lshlrev_b32_e32 v2, 4, v0
	s_and_saveexec_b64 s[8:9], s[2:3]
	s_xor_b64 s[2:3], exec, s[8:9]
; %bb.1:
	v_lshlrev_b32_e32 v2, 4, v0
; %bb.2:
	s_or_saveexec_b64 s[2:3], s[2:3]
	s_load_dwordx4 s[8:11], s[4:5], 0x8
	s_load_dwordx2 s[12:13], s[4:5], 0x18
	s_lshl_b32 s16, s6, 4
	s_xor_b64 exec, exec, s[2:3]
	s_cbranch_execz .LBB4_6
; %bb.3:
	s_load_dwordx2 s[4:5], s[4:5], 0x0
	v_or_b32_e32 v3, s16, v1
	s_movk_i32 s6, 0x210
	v_lshlrev_b32_e32 v3, 5, v3
	v_mad_u32_u24 v4, v1, s6, v2
	s_mov_b64 s[6:7], 0
	s_waitcnt lgkmcnt(0)
	v_mov_b32_e32 v5, s5
	v_mov_b32_e32 v6, v0
.LBB4_4:                                ; =>This Inner Loop Header: Depth=1
	v_add_u32_e32 v7, v3, v6
	v_ashrrev_i32_e32 v8, 31, v7
	v_lshlrev_b64 v[7:8], 4, v[7:8]
	v_add_u32_e32 v11, 16, v6
	v_add_co_u32_e32 v7, vcc, s4, v7
	v_addc_co_u32_e32 v8, vcc, v5, v8, vcc
	global_load_dwordx4 v[7:10], v[7:8], off
	v_cmp_lt_u32_e32 vcc, 15, v6
	s_or_b64 s[6:7], vcc, s[6:7]
	v_mov_b32_e32 v6, v11
	s_waitcnt vmcnt(0)
	ds_write_b128 v4, v[7:10]
	v_add_u32_e32 v4, 0x100, v4
	s_andn2_b64 exec, exec, s[6:7]
	s_cbranch_execnz .LBB4_4
; %bb.5:
	s_or_b64 exec, exec, s[6:7]
.LBB4_6:
	s_or_b64 exec, exec, s[2:3]
	v_lshlrev_b32_e32 v3, 9, v1
	v_mov_b32_e32 v4, 0x4100
	s_movk_i32 s6, 0x2100
	v_lshl_add_u32 v8, v0, 2, v4
	v_add3_u32 v10, v3, v2, s6
	v_lshl_add_u32 v3, v1, 5, v0
	v_mov_b32_e32 v4, 0
	v_lshlrev_b64 v[2:3], 4, v[3:4]
	s_waitcnt lgkmcnt(0)
	v_mov_b32_e32 v6, s9
	v_add_co_u32_e32 v2, vcc, s8, v2
	v_lshlrev_b32_e32 v5, 8, v1
	v_addc_co_u32_e32 v3, vcc, v6, v3, vcc
	v_mov_b32_e32 v6, 0x2100
	v_cmp_gt_u32_e64 s[4:5], 4, v1
	s_mov_b32 s17, 0
	v_cmp_eq_u32_e64 s[2:3], 0, v1
	v_mul_u32_u24_e32 v7, 0x210, v0
	v_add_u32_e32 v9, -16, v0
	v_lshl_add_u32 v1, v1, 11, v6
	v_mov_b32_e32 v12, -1
	v_add_u32_e32 v11, v8, v5
	s_barrier
	s_and_saveexec_b64 s[8:9], s[0:1]
	s_cbranch_execz .LBB4_9
.LBB4_7:
	v_mov_b32_e32 v6, v3
	s_mov_b64 s[14:15], 0
	v_mov_b32_e32 v5, v2
	v_mov_b32_e32 v13, v10
	;; [unrolled: 1-line block ×3, first 2 shown]
.LBB4_8:                                ; =>This Inner Loop Header: Depth=1
	global_load_dwordx4 v[15:18], v[5:6], off
	v_add_co_u32_e64 v14, s[6:7], 16, v14
	s_xor_b64 s[6:7], s[6:7], -1
	v_add_co_u32_e32 v5, vcc, 0x100, v5
	s_and_b64 s[6:7], exec, s[6:7]
	v_addc_co_u32_e32 v6, vcc, 0, v6, vcc
	s_or_b64 s[14:15], s[6:7], s[14:15]
	s_waitcnt vmcnt(0)
	ds_write_b128 v13, v[15:18]
	v_add_u32_e32 v13, 0x100, v13
	s_andn2_b64 exec, exec, s[14:15]
	s_cbranch_execnz .LBB4_8
.LBB4_9:                                ; =>This Loop Header: Depth=1
                                        ;     Child Loop BB4_11 Depth 2
	s_or_b64 exec, exec, s[8:9]
	s_waitcnt lgkmcnt(0)
	s_barrier
	s_and_saveexec_b64 s[6:7], s[4:5]
	s_cbranch_execz .LBB4_13
; %bb.10:                               ;   in Loop: Header=BB4_9 Depth=1
	v_mov_b32_e32 v5, 0
	s_mov_b32 s8, 0
	v_mov_b32_e32 v6, 0
	v_mov_b32_e32 v13, 0
	;; [unrolled: 1-line block ×3, first 2 shown]
.LBB4_11:                               ;   Parent Loop BB4_9 Depth=1
                                        ; =>  This Inner Loop Header: Depth=2
	v_add_u32_e32 v19, s8, v7
	v_add_u32_e32 v31, s8, v1
	ds_read_b128 v[15:18], v19
	ds_read_b128 v[19:22], v19 offset:16
	ds_read_b128 v[23:26], v31
	ds_read_b128 v[27:30], v31 offset:16
	s_add_i32 s8, s8, 32
	s_cmpk_eq_i32 s8, 0x200
	s_waitcnt lgkmcnt(1)
	v_fmac_f32_e32 v5, v15, v23
	v_fmac_f32_e32 v5, v16, v24
	v_fmac_f32_e32 v5, v17, v25
	v_fmac_f32_e32 v5, v18, v26
	ds_read_b128 v[23:26], v31 offset:512
	s_waitcnt lgkmcnt(1)
	v_fmac_f32_e32 v5, v19, v27
	v_fmac_f32_e32 v5, v20, v28
	;; [unrolled: 1-line block ×4, first 2 shown]
	s_waitcnt lgkmcnt(0)
	v_fmac_f32_e32 v6, v15, v23
	v_fmac_f32_e32 v6, v16, v24
	v_fmac_f32_e32 v6, v17, v25
	v_fmac_f32_e32 v6, v18, v26
	ds_read_b128 v[23:26], v31 offset:1024
	s_waitcnt lgkmcnt(0)
	v_fmac_f32_e32 v13, v15, v23
	v_fmac_f32_e32 v13, v16, v24
	v_fmac_f32_e32 v13, v17, v25
	v_fmac_f32_e32 v13, v18, v26
	ds_read_b128 v[23:26], v31 offset:1536
	;; [unrolled: 6-line block ×5, first 2 shown]
	s_waitcnt lgkmcnt(0)
	v_fmac_f32_e32 v14, v19, v15
	v_fmac_f32_e32 v14, v20, v16
	;; [unrolled: 1-line block ×4, first 2 shown]
	s_cbranch_scc0 .LBB4_11
; %bb.12:                               ;   in Loop: Header=BB4_9 Depth=1
	ds_write2_b32 v11, v5, v6 offset1:16
	ds_write2_b32 v11, v13, v14 offset0:32 offset1:48
.LBB4_13:                               ;   in Loop: Header=BB4_9 Depth=1
	s_or_b64 exec, exec, s[6:7]
	s_waitcnt lgkmcnt(0)
	s_barrier
	s_and_saveexec_b64 s[6:7], s[2:3]
	s_cbranch_execz .LBB4_15
; %bb.14:                               ;   in Loop: Header=BB4_9 Depth=1
	ds_read2_b32 v[5:6], v8 offset1:16
	v_mov_b32_e32 v13, s17
	s_or_b32 s8, s17, 1
	v_mov_b32_e32 v14, s8
	s_or_b32 s8, s17, 2
	s_waitcnt lgkmcnt(0)
	v_cmp_gt_f32_e32 vcc, v5, v4
	v_cndmask_b32_e32 v12, v12, v13, vcc
	v_cndmask_b32_e32 v13, v4, v5, vcc
	ds_read2_b32 v[4:5], v8 offset0:32 offset1:48
	v_cmp_gt_f32_e32 vcc, v6, v13
	v_cndmask_b32_e32 v6, v13, v6, vcc
	v_cndmask_b32_e32 v12, v12, v14, vcc
	v_mov_b32_e32 v13, s8
	s_waitcnt lgkmcnt(0)
	v_cmp_gt_f32_e32 vcc, v4, v6
	v_cndmask_b32_e32 v14, v12, v13, vcc
	ds_read2_b32 v[12:13], v8 offset0:64 offset1:80
	v_cndmask_b32_e32 v4, v6, v4, vcc
	s_or_b32 s8, s17, 3
	v_cmp_gt_f32_e32 vcc, v5, v4
	v_mov_b32_e32 v6, s8
	v_cndmask_b32_e32 v4, v4, v5, vcc
	s_or_b32 s8, s17, 4
	v_cndmask_b32_e32 v6, v14, v6, vcc
	v_mov_b32_e32 v5, s8
	s_waitcnt lgkmcnt(0)
	v_cmp_gt_f32_e32 vcc, v12, v4
	v_cndmask_b32_e32 v6, v6, v5, vcc
	v_cndmask_b32_e32 v12, v4, v12, vcc
	ds_read2_b32 v[4:5], v8 offset0:96 offset1:112
	s_or_b32 s8, s17, 5
	v_cmp_gt_f32_e32 vcc, v13, v12
	v_mov_b32_e32 v14, s8
	v_cndmask_b32_e32 v12, v12, v13, vcc
	s_or_b32 s8, s17, 6
	v_cndmask_b32_e32 v6, v6, v14, vcc
	v_mov_b32_e32 v13, s8
	s_waitcnt lgkmcnt(0)
	v_cmp_gt_f32_e32 vcc, v4, v12
	v_cndmask_b32_e32 v6, v6, v13, vcc
	v_cndmask_b32_e32 v4, v12, v4, vcc
	ds_read2_b32 v[12:13], v8 offset0:128 offset1:144
	;; [unrolled: 12-line block ×5, first 2 shown]
	s_or_b32 s8, s17, 13
	v_cmp_gt_f32_e32 vcc, v13, v12
	v_mov_b32_e32 v14, s8
	v_cndmask_b32_e32 v12, v12, v13, vcc
	v_cndmask_b32_e32 v6, v6, v14, vcc
	s_or_b32 s8, s17, 14
	s_waitcnt lgkmcnt(0)
	v_cmp_gt_f32_e32 vcc, v4, v12
	v_mov_b32_e32 v13, s8
	v_cndmask_b32_e32 v4, v12, v4, vcc
	s_or_b32 s8, s17, 15
	v_cndmask_b32_e32 v6, v6, v13, vcc
	v_mov_b32_e32 v12, s8
	v_cmp_gt_f32_e32 vcc, v5, v4
	v_cndmask_b32_e32 v12, v6, v12, vcc
	v_cndmask_b32_e32 v4, v4, v5, vcc
.LBB4_15:                               ;   in Loop: Header=BB4_9 Depth=1
	s_or_b64 exec, exec, s[6:7]
	s_add_i32 s6, s17, 16
	v_add_co_u32_e32 v2, vcc, 0x2000, v2
	s_cmpk_gt_u32 s17, 0x3fef
	v_addc_co_u32_e32 v3, vcc, 0, v3, vcc
	s_barrier
	s_cbranch_scc1 .LBB4_17
; %bb.16:                               ;   in Loop: Header=BB4_9 Depth=1
	s_mov_b32 s17, s6
	s_and_saveexec_b64 s[8:9], s[0:1]
	s_cbranch_execnz .LBB4_7
	s_branch .LBB4_9
.LBB4_17:
	s_and_saveexec_b64 s[0:1], s[2:3]
	s_cbranch_execz .LBB4_19
; %bb.18:
	v_add_u32_e32 v0, s16, v0
	v_ashrrev_i32_e32 v1, 31, v0
	v_lshlrev_b64 v[0:1], 2, v[0:1]
	v_mov_b32_e32 v3, s13
	v_add_co_u32_e32 v2, vcc, s12, v0
	v_addc_co_u32_e32 v3, vcc, v3, v1, vcc
	v_mov_b32_e32 v5, s11
	v_add_co_u32_e32 v0, vcc, s10, v0
	v_addc_co_u32_e32 v1, vcc, v5, v1, vcc
	global_store_dword v[0:1], v4, off
	global_store_dword v[2:3], v12, off
.LBB4_19:
	s_endpgm
	.section	.rodata,"a",@progbits
	.p2align	6, 0x0
	.amdhsa_kernel _Z6Match5PKfS0_PfPi
		.amdhsa_group_segment_fixed_size 17664
		.amdhsa_private_segment_fixed_size 0
		.amdhsa_kernarg_size 32
		.amdhsa_user_sgpr_count 6
		.amdhsa_user_sgpr_private_segment_buffer 1
		.amdhsa_user_sgpr_dispatch_ptr 0
		.amdhsa_user_sgpr_queue_ptr 0
		.amdhsa_user_sgpr_kernarg_segment_ptr 1
		.amdhsa_user_sgpr_dispatch_id 0
		.amdhsa_user_sgpr_flat_scratch_init 0
		.amdhsa_user_sgpr_private_segment_size 0
		.amdhsa_uses_dynamic_stack 0
		.amdhsa_system_sgpr_private_segment_wavefront_offset 0
		.amdhsa_system_sgpr_workgroup_id_x 1
		.amdhsa_system_sgpr_workgroup_id_y 0
		.amdhsa_system_sgpr_workgroup_id_z 0
		.amdhsa_system_sgpr_workgroup_info 0
		.amdhsa_system_vgpr_workitem_id 1
		.amdhsa_next_free_vgpr 32
		.amdhsa_next_free_sgpr 61
		.amdhsa_reserve_vcc 1
		.amdhsa_reserve_flat_scratch 0
		.amdhsa_float_round_mode_32 0
		.amdhsa_float_round_mode_16_64 0
		.amdhsa_float_denorm_mode_32 3
		.amdhsa_float_denorm_mode_16_64 3
		.amdhsa_dx10_clamp 1
		.amdhsa_ieee_mode 1
		.amdhsa_fp16_overflow 0
		.amdhsa_exception_fp_ieee_invalid_op 0
		.amdhsa_exception_fp_denorm_src 0
		.amdhsa_exception_fp_ieee_div_zero 0
		.amdhsa_exception_fp_ieee_overflow 0
		.amdhsa_exception_fp_ieee_underflow 0
		.amdhsa_exception_fp_ieee_inexact 0
		.amdhsa_exception_int_div_zero 0
	.end_amdhsa_kernel
	.text
.Lfunc_end4:
	.size	_Z6Match5PKfS0_PfPi, .Lfunc_end4-_Z6Match5PKfS0_PfPi
                                        ; -- End function
	.set _Z6Match5PKfS0_PfPi.num_vgpr, 32
	.set _Z6Match5PKfS0_PfPi.num_agpr, 0
	.set _Z6Match5PKfS0_PfPi.numbered_sgpr, 18
	.set _Z6Match5PKfS0_PfPi.num_named_barrier, 0
	.set _Z6Match5PKfS0_PfPi.private_seg_size, 0
	.set _Z6Match5PKfS0_PfPi.uses_vcc, 1
	.set _Z6Match5PKfS0_PfPi.uses_flat_scratch, 0
	.set _Z6Match5PKfS0_PfPi.has_dyn_sized_stack, 0
	.set _Z6Match5PKfS0_PfPi.has_recursion, 0
	.set _Z6Match5PKfS0_PfPi.has_indirect_call, 0
	.section	.AMDGPU.csdata,"",@progbits
; Kernel info:
; codeLenInByte = 1292
; TotalNumSgprs: 22
; NumVgprs: 32
; ScratchSize: 0
; MemoryBound: 0
; FloatMode: 240
; IeeeMode: 1
; LDSByteSize: 17664 bytes/workgroup (compile time only)
; SGPRBlocks: 8
; VGPRBlocks: 7
; NumSGPRsForWavesPerEU: 65
; NumVGPRsForWavesPerEU: 32
; Occupancy: 8
; WaveLimiterHint : 0
; COMPUTE_PGM_RSRC2:SCRATCH_EN: 0
; COMPUTE_PGM_RSRC2:USER_SGPR: 6
; COMPUTE_PGM_RSRC2:TRAP_HANDLER: 0
; COMPUTE_PGM_RSRC2:TGID_X_EN: 1
; COMPUTE_PGM_RSRC2:TGID_Y_EN: 0
; COMPUTE_PGM_RSRC2:TGID_Z_EN: 0
; COMPUTE_PGM_RSRC2:TIDIG_COMP_CNT: 1
	.text
	.protected	_Z6Match6PKfS0_PfPi     ; -- Begin function _Z6Match6PKfS0_PfPi
	.globl	_Z6Match6PKfS0_PfPi
	.p2align	8
	.type	_Z6Match6PKfS0_PfPi,@function
_Z6Match6PKfS0_PfPi:                    ; @_Z6Match6PKfS0_PfPi
; %bb.0:
	v_cmp_lt_u32_e32 vcc, 15, v1
	v_cmp_lt_u32_e64 s[2:3], 31, v0
	v_cmp_gt_u32_e64 s[0:1], 32, v0
	s_or_b64 s[2:3], vcc, s[2:3]
	v_lshlrev_b32_e32 v2, 4, v0
	s_and_saveexec_b64 s[8:9], s[2:3]
	s_xor_b64 s[2:3], exec, s[8:9]
; %bb.1:
	v_lshlrev_b32_e32 v2, 4, v0
; %bb.2:
	s_or_saveexec_b64 s[2:3], s[2:3]
	s_load_dwordx4 s[8:11], s[4:5], 0x8
	s_load_dwordx2 s[12:13], s[4:5], 0x18
	s_lshl_b32 s14, s6, 4
	s_xor_b64 exec, exec, s[2:3]
	s_cbranch_execz .LBB5_6
; %bb.3:
	s_load_dwordx2 s[4:5], s[4:5], 0x0
	v_or_b32_e32 v3, s14, v1
	s_movk_i32 s6, 0x210
	v_lshlrev_b32_e32 v3, 5, v3
	v_mad_u32_u24 v4, v1, s6, v2
	s_mov_b64 s[6:7], 0
	s_waitcnt lgkmcnt(0)
	v_mov_b32_e32 v5, s5
	v_mov_b32_e32 v6, v0
.LBB5_4:                                ; =>This Inner Loop Header: Depth=1
	v_add_u32_e32 v7, v3, v6
	v_ashrrev_i32_e32 v8, 31, v7
	v_lshlrev_b64 v[7:8], 4, v[7:8]
	v_add_u32_e32 v11, 16, v6
	v_add_co_u32_e32 v7, vcc, s4, v7
	v_addc_co_u32_e32 v8, vcc, v5, v8, vcc
	global_load_dwordx4 v[7:10], v[7:8], off
	v_cmp_lt_u32_e32 vcc, 15, v6
	s_or_b64 s[6:7], vcc, s[6:7]
	v_mov_b32_e32 v6, v11
	s_waitcnt vmcnt(0)
	ds_write_b128 v4, v[7:10]
	v_add_u32_e32 v4, 0x100, v4
	s_andn2_b64 exec, exec, s[6:7]
	s_cbranch_execnz .LBB5_4
; %bb.5:
	s_or_b64 exec, exec, s[6:7]
.LBB5_6:
	s_or_b64 exec, exec, s[2:3]
	v_lshlrev_b32_e32 v3, 9, v1
	s_movk_i32 s4, 0x2100
	v_add3_u32 v11, v3, v2, s4
	v_lshl_add_u32 v2, v1, 5, v0
	v_mov_b32_e32 v3, 0
	v_lshlrev_b64 v[4:5], 4, v[2:3]
	s_waitcnt lgkmcnt(0)
	v_mov_b32_e32 v2, s9
	v_add_co_u32_e32 v4, vcc, s8, v4
	v_addc_co_u32_e32 v5, vcc, v2, v5, vcc
	v_mov_b32_e32 v2, 0x2100
	v_cmp_gt_u32_e64 s[2:3], 4, v1
	v_mul_u32_u24_e32 v8, 0x210, v0
	v_lshlrev_b32_e32 v9, 2, v1
	v_add_u32_e32 v10, -16, v0
	v_lshl_add_u32 v2, v1, 11, v2
	s_mov_b32 s15, 0
	v_mov_b32_e32 v12, -1
	s_and_saveexec_b64 s[6:7], s[0:1]
	s_cbranch_execz .LBB5_9
.LBB5_7:
	v_mov_b32_e32 v7, v5
	s_mov_b64 s[8:9], 0
	v_mov_b32_e32 v6, v4
	v_mov_b32_e32 v13, v11
	;; [unrolled: 1-line block ×3, first 2 shown]
.LBB5_8:                                ; =>This Inner Loop Header: Depth=1
	global_load_dwordx4 v[15:18], v[6:7], off
	v_add_co_u32_e64 v14, s[4:5], 16, v14
	s_xor_b64 s[4:5], s[4:5], -1
	v_add_co_u32_e32 v6, vcc, 0x100, v6
	s_and_b64 s[4:5], exec, s[4:5]
	v_addc_co_u32_e32 v7, vcc, 0, v7, vcc
	s_or_b64 s[8:9], s[4:5], s[8:9]
	s_waitcnt vmcnt(0)
	ds_write_b128 v13, v[15:18]
	v_add_u32_e32 v13, 0x100, v13
	s_andn2_b64 exec, exec, s[8:9]
	s_cbranch_execnz .LBB5_8
.LBB5_9:                                ; =>This Loop Header: Depth=1
                                        ;     Child Loop BB5_11 Depth 2
	s_or_b64 exec, exec, s[6:7]
	s_waitcnt lgkmcnt(0)
	s_barrier
	s_and_saveexec_b64 s[4:5], s[2:3]
	s_cbranch_execz .LBB5_13
; %bb.10:                               ;   in Loop: Header=BB5_9 Depth=1
	v_mov_b32_e32 v14, 0
	s_mov_b32 s6, 0
	v_mov_b32_e32 v13, 0
	v_mov_b32_e32 v7, 0
	;; [unrolled: 1-line block ×3, first 2 shown]
.LBB5_11:                               ;   Parent Loop BB5_9 Depth=1
                                        ; =>  This Inner Loop Header: Depth=2
	v_add_u32_e32 v19, s6, v8
	v_add_u32_e32 v31, s6, v2
	ds_read_b128 v[15:18], v19
	ds_read_b128 v[19:22], v19 offset:16
	ds_read_b128 v[23:26], v31
	ds_read_b128 v[27:30], v31 offset:16
	s_add_i32 s6, s6, 32
	s_cmpk_eq_i32 s6, 0x200
	s_waitcnt lgkmcnt(1)
	v_fmac_f32_e32 v14, v15, v23
	v_fmac_f32_e32 v14, v16, v24
	v_fmac_f32_e32 v14, v17, v25
	v_fmac_f32_e32 v14, v18, v26
	ds_read_b128 v[23:26], v31 offset:512
	s_waitcnt lgkmcnt(1)
	v_fmac_f32_e32 v14, v19, v27
	v_fmac_f32_e32 v14, v20, v28
	;; [unrolled: 1-line block ×4, first 2 shown]
	s_waitcnt lgkmcnt(0)
	v_fmac_f32_e32 v13, v15, v23
	v_fmac_f32_e32 v13, v16, v24
	v_fmac_f32_e32 v13, v17, v25
	v_fmac_f32_e32 v13, v18, v26
	ds_read_b128 v[23:26], v31 offset:1024
	s_waitcnt lgkmcnt(0)
	v_fmac_f32_e32 v7, v15, v23
	v_fmac_f32_e32 v7, v16, v24
	v_fmac_f32_e32 v7, v17, v25
	v_fmac_f32_e32 v7, v18, v26
	ds_read_b128 v[23:26], v31 offset:1536
	;; [unrolled: 6-line block ×5, first 2 shown]
	s_waitcnt lgkmcnt(0)
	v_fmac_f32_e32 v6, v19, v15
	v_fmac_f32_e32 v6, v20, v16
	;; [unrolled: 1-line block ×4, first 2 shown]
	s_cbranch_scc0 .LBB5_11
; %bb.12:                               ;   in Loop: Header=BB5_9 Depth=1
	v_cmp_gt_f32_e32 vcc, v14, v3
	v_or_b32_e32 v15, s15, v9
	v_cndmask_b32_e32 v3, v3, v14, vcc
	v_cndmask_b32_e32 v12, v12, v15, vcc
	v_cmp_gt_f32_e32 vcc, v13, v3
	v_or_b32_e32 v14, 1, v15
	v_cndmask_b32_e32 v3, v3, v13, vcc
	v_cndmask_b32_e32 v12, v12, v14, vcc
	;; [unrolled: 4-line block ×3, first 2 shown]
	v_or_b32_e32 v7, 3, v15
	v_cmp_gt_f32_e32 vcc, v6, v3
	v_cndmask_b32_e32 v12, v12, v7, vcc
	v_cndmask_b32_e32 v3, v3, v6, vcc
.LBB5_13:                               ;   in Loop: Header=BB5_9 Depth=1
	s_or_b64 exec, exec, s[4:5]
	s_add_i32 s4, s15, 16
	v_add_co_u32_e32 v4, vcc, 0x2000, v4
	s_cmpk_gt_u32 s15, 0x3fef
	v_addc_co_u32_e32 v5, vcc, 0, v5, vcc
	s_barrier
	s_cbranch_scc1 .LBB5_15
; %bb.14:                               ;   in Loop: Header=BB5_9 Depth=1
	s_mov_b32 s15, s4
	s_and_saveexec_b64 s[6:7], s[0:1]
	s_cbranch_execnz .LBB5_7
	s_branch .LBB5_9
.LBB5_15:
	s_and_saveexec_b64 s[0:1], s[2:3]
; %bb.16:
	v_lshlrev_b32_e32 v2, 4, v1
	v_add_lshl_u32 v2, v2, v0, 2
	ds_write2st64_b32 v2, v3, v12 offset1:1
; %bb.17:
	s_or_b64 exec, exec, s[0:1]
	v_cmp_eq_u32_e32 vcc, 0, v1
	s_waitcnt lgkmcnt(0)
	s_barrier
	s_and_saveexec_b64 s[0:1], vcc
	s_cbranch_execz .LBB5_19
; %bb.18:
	v_lshlrev_b32_e32 v3, 2, v0
	ds_read2_b32 v[1:2], v3 offset1:16
	ds_read2_b32 v[3:4], v3 offset0:32 offset1:48
	v_add_u32_e32 v5, 16, v0
	v_add_u32_e32 v6, 32, v0
	s_waitcnt lgkmcnt(1)
	v_cmp_gt_f32_e32 vcc, v2, v1
	v_cndmask_b32_e32 v1, v1, v2, vcc
	v_cndmask_b32_e32 v5, v0, v5, vcc
	s_waitcnt lgkmcnt(0)
	v_cmp_gt_f32_e32 vcc, v3, v1
	v_cndmask_b32_e32 v1, v1, v3, vcc
	v_cndmask_b32_e32 v2, v5, v6, vcc
	v_add_u32_e32 v3, 48, v0
	v_cmp_gt_f32_e32 vcc, v4, v1
	v_cndmask_b32_e32 v2, v2, v3, vcc
	v_cndmask_b32_e32 v4, v1, v4, vcc
	v_lshlrev_b32_e32 v1, 2, v2
	v_add_u32_e32 v0, s14, v0
	ds_read_b32 v5, v1 offset:256
	v_ashrrev_i32_e32 v1, 31, v0
	v_lshlrev_b64 v[0:1], 2, v[0:1]
	v_mov_b32_e32 v3, s11
	v_add_co_u32_e32 v2, vcc, s10, v0
	v_addc_co_u32_e32 v3, vcc, v3, v1, vcc
	global_store_dword v[2:3], v4, off
	v_mov_b32_e32 v2, s13
	v_add_co_u32_e32 v0, vcc, s12, v0
	v_addc_co_u32_e32 v1, vcc, v2, v1, vcc
	s_waitcnt lgkmcnt(0)
	global_store_dword v[0:1], v5, off
.LBB5_19:
	s_endpgm
	.section	.rodata,"a",@progbits
	.p2align	6, 0x0
	.amdhsa_kernel _Z6Match6PKfS0_PfPi
		.amdhsa_group_segment_fixed_size 16640
		.amdhsa_private_segment_fixed_size 0
		.amdhsa_kernarg_size 32
		.amdhsa_user_sgpr_count 6
		.amdhsa_user_sgpr_private_segment_buffer 1
		.amdhsa_user_sgpr_dispatch_ptr 0
		.amdhsa_user_sgpr_queue_ptr 0
		.amdhsa_user_sgpr_kernarg_segment_ptr 1
		.amdhsa_user_sgpr_dispatch_id 0
		.amdhsa_user_sgpr_flat_scratch_init 0
		.amdhsa_user_sgpr_private_segment_size 0
		.amdhsa_uses_dynamic_stack 0
		.amdhsa_system_sgpr_private_segment_wavefront_offset 0
		.amdhsa_system_sgpr_workgroup_id_x 1
		.amdhsa_system_sgpr_workgroup_id_y 0
		.amdhsa_system_sgpr_workgroup_id_z 0
		.amdhsa_system_sgpr_workgroup_info 0
		.amdhsa_system_vgpr_workitem_id 1
		.amdhsa_next_free_vgpr 32
		.amdhsa_next_free_sgpr 61
		.amdhsa_reserve_vcc 1
		.amdhsa_reserve_flat_scratch 0
		.amdhsa_float_round_mode_32 0
		.amdhsa_float_round_mode_16_64 0
		.amdhsa_float_denorm_mode_32 3
		.amdhsa_float_denorm_mode_16_64 3
		.amdhsa_dx10_clamp 1
		.amdhsa_ieee_mode 1
		.amdhsa_fp16_overflow 0
		.amdhsa_exception_fp_ieee_invalid_op 0
		.amdhsa_exception_fp_denorm_src 0
		.amdhsa_exception_fp_ieee_div_zero 0
		.amdhsa_exception_fp_ieee_overflow 0
		.amdhsa_exception_fp_ieee_underflow 0
		.amdhsa_exception_fp_ieee_inexact 0
		.amdhsa_exception_int_div_zero 0
	.end_amdhsa_kernel
	.text
.Lfunc_end5:
	.size	_Z6Match6PKfS0_PfPi, .Lfunc_end5-_Z6Match6PKfS0_PfPi
                                        ; -- End function
	.set _Z6Match6PKfS0_PfPi.num_vgpr, 32
	.set _Z6Match6PKfS0_PfPi.num_agpr, 0
	.set _Z6Match6PKfS0_PfPi.numbered_sgpr, 16
	.set _Z6Match6PKfS0_PfPi.num_named_barrier, 0
	.set _Z6Match6PKfS0_PfPi.private_seg_size, 0
	.set _Z6Match6PKfS0_PfPi.uses_vcc, 1
	.set _Z6Match6PKfS0_PfPi.uses_flat_scratch, 0
	.set _Z6Match6PKfS0_PfPi.has_dyn_sized_stack, 0
	.set _Z6Match6PKfS0_PfPi.has_recursion, 0
	.set _Z6Match6PKfS0_PfPi.has_indirect_call, 0
	.section	.AMDGPU.csdata,"",@progbits
; Kernel info:
; codeLenInByte = 1008
; TotalNumSgprs: 20
; NumVgprs: 32
; ScratchSize: 0
; MemoryBound: 0
; FloatMode: 240
; IeeeMode: 1
; LDSByteSize: 16640 bytes/workgroup (compile time only)
; SGPRBlocks: 8
; VGPRBlocks: 7
; NumSGPRsForWavesPerEU: 65
; NumVGPRsForWavesPerEU: 32
; Occupancy: 8
; WaveLimiterHint : 0
; COMPUTE_PGM_RSRC2:SCRATCH_EN: 0
; COMPUTE_PGM_RSRC2:USER_SGPR: 6
; COMPUTE_PGM_RSRC2:TRAP_HANDLER: 0
; COMPUTE_PGM_RSRC2:TGID_X_EN: 1
; COMPUTE_PGM_RSRC2:TGID_Y_EN: 0
; COMPUTE_PGM_RSRC2:TGID_Z_EN: 0
; COMPUTE_PGM_RSRC2:TIDIG_COMP_CNT: 1
	.text
	.protected	_Z6Match7PKfS0_PfPi     ; -- Begin function _Z6Match7PKfS0_PfPi
	.globl	_Z6Match7PKfS0_PfPi
	.p2align	8
	.type	_Z6Match7PKfS0_PfPi,@function
_Z6Match7PKfS0_PfPi:                    ; @_Z6Match7PKfS0_PfPi
; %bb.0:
	v_or_b32_e32 v2, v0, v1
	v_cmp_gt_u32_e64 s[0:1], 32, v2
	v_cmp_lt_u32_e32 vcc, 31, v2
	v_lshlrev_b32_e32 v2, 9, v1
	v_lshlrev_b32_e32 v3, 5, v1
	s_and_saveexec_b64 s[2:3], vcc
	s_xor_b64 s[2:3], exec, s[2:3]
; %bb.1:
	v_lshlrev_b32_e32 v2, 9, v1
	v_lshlrev_b32_e32 v3, 5, v1
; %bb.2:
	s_or_saveexec_b64 s[12:13], s[2:3]
	s_load_dwordx4 s[8:11], s[4:5], 0x8
	s_load_dwordx2 s[2:3], s[4:5], 0x18
	s_xor_b64 exec, exec, s[12:13]
	s_cbranch_execz .LBB6_6
; %bb.3:
	s_load_dwordx2 s[4:5], s[4:5], 0x0
	v_add_u32_e32 v4, v1, v0
	v_lshl_add_u32 v5, s6, 10, v3
	s_mov_b64 s[14:15], 0
	v_mov_b32_e32 v6, v2
	s_waitcnt lgkmcnt(0)
	v_mov_b32_e32 v7, s5
	v_mov_b32_e32 v8, v1
.LBB6_4:                                ; =>This Inner Loop Header: Depth=1
	v_add_u32_e32 v9, v0, v5
	v_ashrrev_i32_e32 v10, 31, v9
	v_lshlrev_b64 v[9:10], 4, v[9:10]
	v_and_b32_e32 v13, 31, v4
	v_add_co_u32_e32 v9, vcc, s4, v9
	v_addc_co_u32_e32 v10, vcc, v7, v10, vcc
	global_load_dwordx4 v[9:12], v[9:10], off
	v_add_u32_e32 v14, 8, v8
	v_cmp_lt_u32_e32 vcc, 23, v8
	v_add_u16_e32 v4, 8, v4
	v_add_u32_e32 v5, 0x100, v5
	v_lshl_add_u32 v13, v13, 4, v6
	v_add_u32_e32 v6, 0x1000, v6
	s_or_b64 s[14:15], vcc, s[14:15]
	v_mov_b32_e32 v8, v14
	s_waitcnt vmcnt(0)
	ds_write_b128 v13, v[9:12]
	s_andn2_b64 exec, exec, s[14:15]
	s_cbranch_execnz .LBB6_4
; %bb.5:
	s_or_b64 exec, exec, s[14:15]
.LBB6_6:
	s_or_b64 exec, exec, s[12:13]
	v_lshlrev_b32_e32 v4, 4, v0
	s_movk_i32 s4, 0x4000
	v_add3_u32 v11, v2, v4, s4
	v_add_u32_e32 v2, v0, v3
	v_mov_b32_e32 v3, 0
	v_lshlrev_b64 v[4:5], 4, v[2:3]
	s_waitcnt lgkmcnt(0)
	v_mov_b32_e32 v6, s9
	v_add_co_u32_e32 v4, vcc, s8, v4
	v_addc_co_u32_e32 v5, vcc, v6, v5, vcc
	v_mov_b32_e32 v6, 0x4000
	v_lshlrev_b32_e32 v8, 9, v0
	v_lshlrev_b32_e32 v9, 2, v1
	v_add_u32_e32 v10, -8, v1
	v_lshl_add_u32 v12, v1, 11, v6
	s_mov_b32 s7, 0
	v_mov_b32_e32 v13, -1
	s_and_saveexec_b64 s[4:5], s[0:1]
	s_cbranch_execz .LBB6_9
.LBB6_7:
	v_mov_b32_e32 v7, v5
	s_mov_b64 s[8:9], 0
	v_mov_b32_e32 v6, v4
	v_mov_b32_e32 v14, v11
	;; [unrolled: 1-line block ×3, first 2 shown]
.LBB6_8:                                ; =>This Inner Loop Header: Depth=1
	global_load_dwordx4 v[16:19], v[6:7], off
	v_add_co_u32_e32 v6, vcc, 0x1000, v6
	v_add_u32_e32 v15, 8, v15
	v_addc_co_u32_e32 v7, vcc, 0, v7, vcc
	v_cmp_lt_u32_e32 vcc, 23, v15
	s_or_b64 s[8:9], vcc, s[8:9]
	s_waitcnt vmcnt(0)
	ds_write_b128 v14, v[16:19]
	v_add_u32_e32 v14, 0x1000, v14
	s_andn2_b64 exec, exec, s[8:9]
	s_cbranch_execnz .LBB6_8
.LBB6_9:                                ; =>This Loop Header: Depth=1
                                        ;     Child Loop BB6_10 Depth 2
	s_or_b64 exec, exec, s[4:5]
	v_mov_b32_e32 v14, 0
	s_mov_b32 s4, 0
	v_mov_b32_e32 v16, v12
	v_mov_b32_e32 v15, 0
	v_mov_b32_e32 v7, 0
	v_mov_b32_e32 v6, 0
	s_waitcnt lgkmcnt(0)
	s_barrier
.LBB6_10:                               ;   Parent Loop BB6_9 Depth=1
                                        ; =>  This Inner Loop Header: Depth=2
	v_add_u32_e32 v29, s4, v0
	v_and_b32_e32 v17, 31, v29
	v_lshl_add_u32 v17, v17, 4, v8
	ds_read_b128 v[17:20], v17
	ds_read_b128 v[21:24], v16
	ds_read_b128 v[25:28], v16 offset:16
	s_add_i32 s4, s4, 2
	s_cmp_eq_u32 s4, 32
	s_waitcnt lgkmcnt(1)
	v_fmac_f32_e32 v14, v17, v21
	v_fmac_f32_e32 v14, v18, v22
	v_fmac_f32_e32 v14, v19, v23
	v_fmac_f32_e32 v14, v20, v24
	ds_read_b128 v[21:24], v16 offset:512
	s_waitcnt lgkmcnt(0)
	v_fmac_f32_e32 v15, v17, v21
	v_fmac_f32_e32 v15, v18, v22
	v_fmac_f32_e32 v15, v19, v23
	v_fmac_f32_e32 v15, v20, v24
	ds_read_b128 v[21:24], v16 offset:1024
	;; [unrolled: 6-line block ×3, first 2 shown]
	s_waitcnt lgkmcnt(0)
	v_fmac_f32_e32 v6, v17, v21
	v_add_u32_e32 v17, 1, v29
	v_fmac_f32_e32 v6, v18, v22
	v_and_b32_e32 v17, 31, v17
	v_fmac_f32_e32 v6, v19, v23
	v_lshl_add_u32 v17, v17, 4, v8
	v_fmac_f32_e32 v6, v20, v24
	ds_read_b128 v[17:20], v17
	ds_read_b128 v[21:24], v16 offset:528
	s_waitcnt lgkmcnt(1)
	v_fmac_f32_e32 v14, v17, v25
	s_waitcnt lgkmcnt(0)
	v_fmac_f32_e32 v15, v17, v21
	v_fmac_f32_e32 v15, v18, v22
	;; [unrolled: 1-line block ×4, first 2 shown]
	ds_read_b128 v[21:24], v16 offset:1040
	v_fmac_f32_e32 v14, v18, v26
	v_fmac_f32_e32 v14, v19, v27
	;; [unrolled: 1-line block ×3, first 2 shown]
	s_waitcnt lgkmcnt(0)
	v_fmac_f32_e32 v7, v17, v21
	v_fmac_f32_e32 v7, v18, v22
	;; [unrolled: 1-line block ×4, first 2 shown]
	ds_read_b128 v[21:24], v16 offset:1552
	v_add_u32_e32 v16, 32, v16
	s_waitcnt lgkmcnt(0)
	v_fmac_f32_e32 v6, v17, v21
	v_fmac_f32_e32 v6, v18, v22
	;; [unrolled: 1-line block ×4, first 2 shown]
	s_cbranch_scc0 .LBB6_10
; %bb.11:                               ;   in Loop: Header=BB6_9 Depth=1
	v_cmp_gt_f32_e32 vcc, v14, v3
	v_add_u32_e32 v16, s7, v9
	v_cndmask_b32_e32 v3, v3, v14, vcc
	v_cndmask_b32_e32 v13, v13, v16, vcc
	v_cmp_gt_f32_e32 vcc, v15, v3
	v_or_b32_e32 v14, 1, v16
	v_cndmask_b32_e32 v3, v3, v15, vcc
	v_cndmask_b32_e32 v13, v13, v14, vcc
	v_cmp_gt_f32_e32 vcc, v7, v3
	v_or_b32_e32 v14, 2, v16
	v_cndmask_b32_e32 v3, v3, v7, vcc
	v_cndmask_b32_e32 v13, v13, v14, vcc
	v_or_b32_e32 v7, 3, v16
	v_cmp_gt_f32_e32 vcc, v6, v3
	v_cndmask_b32_e32 v13, v13, v7, vcc
	v_cndmask_b32_e32 v3, v3, v6, vcc
	s_add_i32 s4, s7, 32
	v_add_co_u32_e32 v4, vcc, 0x4000, v4
	s_cmpk_gt_u32 s7, 0x3fdf
	v_addc_co_u32_e32 v5, vcc, 0, v5, vcc
	s_barrier
	s_cbranch_scc1 .LBB6_13
; %bb.12:                               ;   in Loop: Header=BB6_9 Depth=1
	s_mov_b32 s7, s4
	s_and_saveexec_b64 s[4:5], s[0:1]
	s_cbranch_execnz .LBB6_7
	s_branch .LBB6_9
.LBB6_13:
	v_lshlrev_b32_e32 v2, 2, v2
	v_cmp_eq_u32_e32 vcc, 0, v1
	ds_write2st64_b32 v2, v3, v13 offset1:4
	s_waitcnt lgkmcnt(0)
	s_barrier
	s_and_saveexec_b64 s[0:1], vcc
	s_cbranch_execz .LBB6_15
; %bb.14:
	v_lshlrev_b32_e32 v5, 2, v0
	ds_read2_b32 v[1:2], v5 offset1:32
	ds_read2_b32 v[3:4], v5 offset0:64 offset1:96
	v_add_u32_e32 v6, 32, v0
	v_add_u32_e32 v7, 64, v0
	s_waitcnt lgkmcnt(1)
	v_cmp_gt_f32_e32 vcc, v2, v1
	v_cndmask_b32_e32 v1, v1, v2, vcc
	v_cndmask_b32_e32 v6, v0, v6, vcc
	s_waitcnt lgkmcnt(0)
	v_cmp_gt_f32_e32 vcc, v3, v1
	v_cndmask_b32_e32 v3, v1, v3, vcc
	ds_read2_b32 v[1:2], v5 offset0:128 offset1:160
	v_cndmask_b32_e32 v6, v6, v7, vcc
	v_cmp_gt_f32_e32 vcc, v4, v3
	v_add_u32_e32 v7, 0x60, v0
	v_cndmask_b32_e32 v3, v3, v4, vcc
	v_cndmask_b32_e32 v6, v6, v7, vcc
	v_add_u32_e32 v4, 0x80, v0
	s_waitcnt lgkmcnt(0)
	v_cmp_gt_f32_e32 vcc, v1, v3
	v_cndmask_b32_e32 v6, v6, v4, vcc
	v_cndmask_b32_e32 v1, v3, v1, vcc
	ds_read2_b32 v[3:4], v5 offset0:192 offset1:224
	v_cmp_gt_f32_e32 vcc, v2, v1
	v_add_u32_e32 v7, 0xa0, v0
	v_cndmask_b32_e32 v1, v1, v2, vcc
	v_cndmask_b32_e32 v5, v6, v7, vcc
	s_waitcnt lgkmcnt(0)
	v_cmp_gt_f32_e32 vcc, v3, v1
	v_add_u32_e32 v2, 0xc0, v0
	v_cndmask_b32_e32 v1, v1, v3, vcc
	v_cndmask_b32_e32 v2, v5, v2, vcc
	v_add_u32_e32 v3, 0xe0, v0
	v_cmp_gt_f32_e32 vcc, v4, v1
	v_cndmask_b32_e32 v2, v2, v3, vcc
	v_cndmask_b32_e32 v4, v1, v4, vcc
	v_lshlrev_b32_e32 v1, 2, v2
	v_lshl_add_u32 v0, s6, 5, v0
	ds_read_b32 v5, v1 offset:1024
	v_ashrrev_i32_e32 v1, 31, v0
	v_lshlrev_b64 v[0:1], 2, v[0:1]
	v_mov_b32_e32 v3, s11
	v_add_co_u32_e32 v2, vcc, s10, v0
	v_addc_co_u32_e32 v3, vcc, v3, v1, vcc
	global_store_dword v[2:3], v4, off
	v_mov_b32_e32 v2, s3
	v_add_co_u32_e32 v0, vcc, s2, v0
	v_addc_co_u32_e32 v1, vcc, v2, v1, vcc
	s_waitcnt lgkmcnt(0)
	global_store_dword v[0:1], v5, off
.LBB6_15:
	s_endpgm
	.section	.rodata,"a",@progbits
	.p2align	6, 0x0
	.amdhsa_kernel _Z6Match7PKfS0_PfPi
		.amdhsa_group_segment_fixed_size 32768
		.amdhsa_private_segment_fixed_size 0
		.amdhsa_kernarg_size 32
		.amdhsa_user_sgpr_count 6
		.amdhsa_user_sgpr_private_segment_buffer 1
		.amdhsa_user_sgpr_dispatch_ptr 0
		.amdhsa_user_sgpr_queue_ptr 0
		.amdhsa_user_sgpr_kernarg_segment_ptr 1
		.amdhsa_user_sgpr_dispatch_id 0
		.amdhsa_user_sgpr_flat_scratch_init 0
		.amdhsa_user_sgpr_private_segment_size 0
		.amdhsa_uses_dynamic_stack 0
		.amdhsa_system_sgpr_private_segment_wavefront_offset 0
		.amdhsa_system_sgpr_workgroup_id_x 1
		.amdhsa_system_sgpr_workgroup_id_y 0
		.amdhsa_system_sgpr_workgroup_id_z 0
		.amdhsa_system_sgpr_workgroup_info 0
		.amdhsa_system_vgpr_workitem_id 1
		.amdhsa_next_free_vgpr 30
		.amdhsa_next_free_sgpr 61
		.amdhsa_reserve_vcc 1
		.amdhsa_reserve_flat_scratch 0
		.amdhsa_float_round_mode_32 0
		.amdhsa_float_round_mode_16_64 0
		.amdhsa_float_denorm_mode_32 3
		.amdhsa_float_denorm_mode_16_64 3
		.amdhsa_dx10_clamp 1
		.amdhsa_ieee_mode 1
		.amdhsa_fp16_overflow 0
		.amdhsa_exception_fp_ieee_invalid_op 0
		.amdhsa_exception_fp_denorm_src 0
		.amdhsa_exception_fp_ieee_div_zero 0
		.amdhsa_exception_fp_ieee_overflow 0
		.amdhsa_exception_fp_ieee_underflow 0
		.amdhsa_exception_fp_ieee_inexact 0
		.amdhsa_exception_int_div_zero 0
	.end_amdhsa_kernel
	.text
.Lfunc_end6:
	.size	_Z6Match7PKfS0_PfPi, .Lfunc_end6-_Z6Match7PKfS0_PfPi
                                        ; -- End function
	.set _Z6Match7PKfS0_PfPi.num_vgpr, 30
	.set _Z6Match7PKfS0_PfPi.num_agpr, 0
	.set _Z6Match7PKfS0_PfPi.numbered_sgpr, 16
	.set _Z6Match7PKfS0_PfPi.num_named_barrier, 0
	.set _Z6Match7PKfS0_PfPi.private_seg_size, 0
	.set _Z6Match7PKfS0_PfPi.uses_vcc, 1
	.set _Z6Match7PKfS0_PfPi.uses_flat_scratch, 0
	.set _Z6Match7PKfS0_PfPi.has_dyn_sized_stack, 0
	.set _Z6Match7PKfS0_PfPi.has_recursion, 0
	.set _Z6Match7PKfS0_PfPi.has_indirect_call, 0
	.section	.AMDGPU.csdata,"",@progbits
; Kernel info:
; codeLenInByte = 1116
; TotalNumSgprs: 20
; NumVgprs: 30
; ScratchSize: 0
; MemoryBound: 0
; FloatMode: 240
; IeeeMode: 1
; LDSByteSize: 32768 bytes/workgroup (compile time only)
; SGPRBlocks: 8
; VGPRBlocks: 7
; NumSGPRsForWavesPerEU: 65
; NumVGPRsForWavesPerEU: 30
; Occupancy: 8
; WaveLimiterHint : 0
; COMPUTE_PGM_RSRC2:SCRATCH_EN: 0
; COMPUTE_PGM_RSRC2:USER_SGPR: 6
; COMPUTE_PGM_RSRC2:TRAP_HANDLER: 0
; COMPUTE_PGM_RSRC2:TGID_X_EN: 1
; COMPUTE_PGM_RSRC2:TGID_Y_EN: 0
; COMPUTE_PGM_RSRC2:TGID_Z_EN: 0
; COMPUTE_PGM_RSRC2:TIDIG_COMP_CNT: 1
	.text
	.protected	_Z6Match8PKfS0_PfPi     ; -- Begin function _Z6Match8PKfS0_PfPi
	.globl	_Z6Match8PKfS0_PfPi
	.p2align	8
	.type	_Z6Match8PKfS0_PfPi,@function
_Z6Match8PKfS0_PfPi:                    ; @_Z6Match8PKfS0_PfPi
; %bb.0:
	v_or_b32_e32 v2, v0, v1
	v_cmp_gt_u32_e64 s[0:1], 32, v2
	v_cmp_lt_u32_e32 vcc, 31, v2
	v_lshlrev_b32_e32 v3, 5, v1
	v_lshlrev_b32_e32 v2, 9, v1
	s_and_saveexec_b64 s[2:3], vcc
	s_xor_b64 s[2:3], exec, s[2:3]
; %bb.1:
	v_lshlrev_b32_e32 v3, 5, v1
	v_lshlrev_b32_e32 v2, 9, v1
; %bb.2:
	s_or_saveexec_b64 s[2:3], s[2:3]
	s_load_dwordx4 s[8:11], s[4:5], 0x8
	s_load_dwordx2 s[12:13], s[4:5], 0x18
	s_xor_b64 exec, exec, s[2:3]
	s_cbranch_execz .LBB7_6
; %bb.3:
	s_load_dwordx2 s[4:5], s[4:5], 0x0
	v_add_u32_e32 v4, v1, v0
	v_lshl_add_u32 v5, s6, 10, v3
	s_mov_b64 s[14:15], 0
	v_mov_b32_e32 v6, v2
	s_waitcnt lgkmcnt(0)
	v_mov_b32_e32 v7, s5
	v_mov_b32_e32 v8, v1
.LBB7_4:                                ; =>This Inner Loop Header: Depth=1
	v_add_u32_e32 v9, v0, v5
	v_ashrrev_i32_e32 v10, 31, v9
	v_lshlrev_b64 v[9:10], 4, v[9:10]
	v_and_b32_e32 v13, 31, v4
	v_add_co_u32_e32 v9, vcc, s4, v9
	v_addc_co_u32_e32 v10, vcc, v7, v10, vcc
	global_load_dwordx4 v[9:12], v[9:10], off
	v_add_u32_e32 v14, 8, v8
	v_cmp_lt_u32_e32 vcc, 23, v8
	v_add_u16_e32 v4, 8, v4
	v_add_u32_e32 v5, 0x100, v5
	v_lshl_add_u32 v13, v13, 4, v6
	v_add_u32_e32 v6, 0x1000, v6
	s_or_b64 s[14:15], vcc, s[14:15]
	v_mov_b32_e32 v8, v14
	s_waitcnt vmcnt(0)
	ds_write_b128 v13, v[9:12]
	s_andn2_b64 exec, exec, s[14:15]
	s_cbranch_execnz .LBB7_4
; %bb.5:
	s_or_b64 exec, exec, s[14:15]
.LBB7_6:
	s_or_b64 exec, exec, s[2:3]
	v_add_u32_e32 v21, v3, v0
	v_lshlrev_b32_e32 v3, 4, v0
	s_movk_i32 s4, 0x4000
	v_mov_b32_e32 v22, 0
	v_add3_u32 v30, v2, v3, s4
	v_lshlrev_b64 v[2:3], 4, v[21:22]
	v_and_b32_e32 v25, 15, v0
	v_lshrrev_b32_e32 v26, 4, v21
	s_movk_i32 s2, 0x80
	s_waitcnt lgkmcnt(0)
	v_mov_b32_e32 v4, s9
	v_add_co_u32_e32 v23, vcc, s8, v2
	v_mov_b32_e32 v2, 0x4000
	v_mov_b32_e32 v32, -1
	v_cmp_gt_u32_e64 s[2:3], s2, v21
	v_lshlrev_b32_e32 v27, 2, v26
	v_lshlrev_b32_e32 v28, 9, v25
	v_add_u32_e32 v29, -8, v1
	v_addc_co_u32_e32 v24, vcc, v4, v3, vcc
	v_lshl_add_u32 v31, v26, 11, v2
	v_mov_b32_e32 v33, v32
	s_mov_b32 s7, 0
	v_mov_b32_e32 v34, v22
	s_and_saveexec_b64 s[4:5], s[0:1]
	s_cbranch_execz .LBB7_9
.LBB7_7:
	v_mov_b32_e32 v2, v23
	s_mov_b64 s[8:9], 0
	v_mov_b32_e32 v3, v24
	v_mov_b32_e32 v4, v30
	;; [unrolled: 1-line block ×3, first 2 shown]
.LBB7_8:                                ; =>This Inner Loop Header: Depth=1
	global_load_dwordx4 v[6:9], v[2:3], off
	v_add_co_u32_e32 v2, vcc, 0x1000, v2
	v_add_u32_e32 v5, 8, v5
	v_addc_co_u32_e32 v3, vcc, 0, v3, vcc
	v_cmp_lt_u32_e32 vcc, 23, v5
	s_or_b64 s[8:9], vcc, s[8:9]
	s_waitcnt vmcnt(0)
	ds_write_b128 v4, v[6:9]
	v_add_u32_e32 v4, 0x1000, v4
	s_andn2_b64 exec, exec, s[8:9]
	s_cbranch_execnz .LBB7_8
.LBB7_9:                                ; =>This Loop Header: Depth=1
                                        ;     Child Loop BB7_11 Depth 2
	s_or_b64 exec, exec, s[4:5]
	s_waitcnt lgkmcnt(0)
	s_barrier
	s_and_saveexec_b64 s[4:5], s[2:3]
	s_cbranch_execz .LBB7_13
; %bb.10:                               ;   in Loop: Header=BB7_9 Depth=1
	v_mov_b32_e32 v41, 0
	s_mov_b32 s8, 0
	v_mov_b32_e32 v43, v25
	v_mov_b32_e32 v42, 0
	;; [unrolled: 1-line block ×8, first 2 shown]
.LBB7_11:                               ;   Parent Loop BB7_9 Depth=1
                                        ; =>  This Inner Loop Header: Depth=2
	v_and_b32_e32 v19, 31, v43
	v_add_u32_e32 v18, s8, v31
	v_lshl_add_u32 v6, v19, 4, v28
	ds_read_b128 v[2:5], v18
	ds_read_b128 v[10:13], v18 offset:512
	ds_read_b128 v[44:47], v18 offset:1024
	ds_read_b128 v[14:17], v6
	ds_read_b128 v[6:9], v18 offset:1536
	s_add_i32 s8, s8, 32
	s_cmpk_eq_i32 s8, 0x200
	s_waitcnt lgkmcnt(1)
	v_fmac_f32_e32 v41, v2, v14
	v_fmac_f32_e32 v40, v10, v14
	;; [unrolled: 1-line block ×3, first 2 shown]
	s_waitcnt lgkmcnt(0)
	v_fmac_f32_e32 v36, v6, v14
	v_fmac_f32_e32 v41, v3, v15
	;; [unrolled: 1-line block ×5, first 2 shown]
	v_xor_b32_e32 v14, 16, v19
	v_fmac_f32_e32 v41, v4, v16
	v_fmac_f32_e32 v40, v12, v16
	;; [unrolled: 1-line block ×4, first 2 shown]
	v_lshl_add_u32 v14, v14, 4, v28
	v_fmac_f32_e32 v41, v5, v17
	v_fmac_f32_e32 v40, v13, v17
	;; [unrolled: 1-line block ×4, first 2 shown]
	ds_read_b128 v[14:17], v14 offset:8192
	s_waitcnt lgkmcnt(0)
	v_fmac_f32_e32 v42, v2, v14
	v_add_u32_e32 v2, 1, v43
	v_fmac_f32_e32 v39, v10, v14
	v_fmac_f32_e32 v37, v44, v14
	;; [unrolled: 1-line block ×5, first 2 shown]
	v_and_b32_e32 v19, 31, v2
	v_fmac_f32_e32 v37, v45, v15
	v_fmac_f32_e32 v35, v7, v15
	;; [unrolled: 1-line block ×6, first 2 shown]
	v_lshl_add_u32 v14, v19, 4, v28
	v_fmac_f32_e32 v42, v5, v17
	v_fmac_f32_e32 v39, v13, v17
	ds_read_b128 v[10:13], v18 offset:16
	v_fmac_f32_e32 v37, v47, v17
	ds_read_b128 v[2:5], v18 offset:528
	;; [unrolled: 2-line block ×3, first 2 shown]
	ds_read_b128 v[44:47], v14
	ds_read_b128 v[14:17], v18 offset:1552
	v_xor_b32_e32 v18, 16, v19
	v_lshl_add_u32 v18, v18, 4, v28
	ds_read_b128 v[18:21], v18 offset:8192
	s_waitcnt lgkmcnt(2)
	v_fmac_f32_e32 v41, v10, v44
	v_fmac_f32_e32 v40, v2, v44
	;; [unrolled: 1-line block ×3, first 2 shown]
	s_waitcnt lgkmcnt(1)
	v_fmac_f32_e32 v36, v14, v44
	s_waitcnt lgkmcnt(0)
	v_fmac_f32_e32 v42, v10, v18
	v_fmac_f32_e32 v39, v2, v18
	;; [unrolled: 1-line block ×25, first 2 shown]
	v_add_u32_e32 v43, 2, v43
	v_fmac_f32_e32 v39, v5, v21
	v_fmac_f32_e32 v37, v9, v21
	;; [unrolled: 1-line block ×3, first 2 shown]
	s_cbranch_scc0 .LBB7_11
; %bb.12:                               ;   in Loop: Header=BB7_9 Depth=1
	v_or_b32_e32 v2, s7, v27
	v_cmp_gt_f32_e32 vcc, v41, v34
	v_cndmask_b32_e32 v3, v32, v2, vcc
	v_cndmask_b32_e32 v4, v34, v41, vcc
	v_cmp_gt_f32_e32 vcc, v42, v22
	v_cndmask_b32_e32 v5, v33, v2, vcc
	v_cndmask_b32_e32 v6, v22, v42, vcc
	v_or_b32_e32 v7, 1, v2
	v_cmp_gt_f32_e32 vcc, v40, v4
	v_cndmask_b32_e32 v3, v3, v7, vcc
	v_cndmask_b32_e32 v4, v4, v40, vcc
	v_cmp_gt_f32_e32 vcc, v39, v6
	v_cndmask_b32_e32 v5, v5, v7, vcc
	v_cndmask_b32_e32 v6, v6, v39, vcc
	;; [unrolled: 7-line block ×4, first 2 shown]
.LBB7_13:                               ;   in Loop: Header=BB7_9 Depth=1
	s_or_b64 exec, exec, s[4:5]
	s_add_i32 s4, s7, 32
	v_add_co_u32_e32 v23, vcc, 0x4000, v23
	s_cmpk_gt_u32 s7, 0x3fdf
	v_addc_co_u32_e32 v24, vcc, 0, v24, vcc
	s_barrier
	s_cbranch_scc1 .LBB7_15
; %bb.14:                               ;   in Loop: Header=BB7_9 Depth=1
	s_mov_b32 s7, s4
	s_and_saveexec_b64 s[4:5], s[0:1]
	s_cbranch_execnz .LBB7_7
	s_branch .LBB7_9
.LBB7_15:
	s_and_saveexec_b64 s[0:1], s[2:3]
	s_cbranch_execz .LBB7_17
; %bb.16:
	v_lshlrev_b32_e32 v2, 2, v25
	v_lshl_or_b32 v2, v26, 7, v2
	ds_write2_b32 v2, v34, v22 offset1:16
	v_add_u32_e32 v2, 0x400, v2
	ds_write2_b32 v2, v32, v33 offset1:16
.LBB7_17:
	s_or_b64 exec, exec, s[0:1]
	v_cmp_eq_u32_e32 vcc, 0, v1
	s_waitcnt lgkmcnt(0)
	s_barrier
	s_and_saveexec_b64 s[0:1], vcc
	s_cbranch_execz .LBB7_19
; %bb.18:
	v_lshlrev_b32_e32 v5, 2, v0
	ds_read2_b32 v[1:2], v5 offset1:32
	ds_read2_b32 v[3:4], v5 offset0:64 offset1:96
	v_add_u32_e32 v6, 32, v0
	v_add_u32_e32 v7, 64, v0
	s_waitcnt lgkmcnt(1)
	v_cmp_gt_f32_e32 vcc, v2, v1
	v_cndmask_b32_e32 v1, v1, v2, vcc
	v_cndmask_b32_e32 v2, v0, v6, vcc
	s_waitcnt lgkmcnt(0)
	v_cmp_gt_f32_e32 vcc, v3, v1
	v_cndmask_b32_e32 v3, v1, v3, vcc
	v_cndmask_b32_e32 v6, v2, v7, vcc
	ds_read2_b32 v[1:2], v5 offset0:128 offset1:160
	v_cmp_gt_f32_e32 vcc, v4, v3
	v_add_u32_e32 v7, 0x60, v0
	v_cndmask_b32_e32 v3, v3, v4, vcc
	v_cndmask_b32_e32 v4, v6, v7, vcc
	v_add_u32_e32 v6, 0x80, v0
	s_waitcnt lgkmcnt(0)
	v_cmp_gt_f32_e32 vcc, v1, v3
	v_cndmask_b32_e32 v1, v3, v1, vcc
	v_cndmask_b32_e32 v6, v4, v6, vcc
	ds_read2_b32 v[3:4], v5 offset0:192 offset1:224
	v_cmp_gt_f32_e32 vcc, v2, v1
	v_add_u32_e32 v7, 0xa0, v0
	v_cndmask_b32_e32 v1, v1, v2, vcc
	v_cndmask_b32_e32 v2, v6, v7, vcc
	s_waitcnt lgkmcnt(0)
	v_cmp_gt_f32_e32 vcc, v3, v1
	v_add_u32_e32 v5, 0xc0, v0
	v_cndmask_b32_e32 v1, v1, v3, vcc
	v_cndmask_b32_e32 v2, v2, v5, vcc
	v_add_u32_e32 v3, 0xe0, v0
	v_cmp_gt_f32_e32 vcc, v4, v1
	v_cndmask_b32_e32 v4, v1, v4, vcc
	v_cndmask_b32_e32 v1, v2, v3, vcc
	v_lshlrev_b32_e32 v1, 2, v1
	v_lshl_add_u32 v0, s6, 5, v0
	ds_read_b32 v5, v1 offset:1024
	v_ashrrev_i32_e32 v1, 31, v0
	v_lshlrev_b64 v[0:1], 2, v[0:1]
	v_mov_b32_e32 v3, s11
	v_add_co_u32_e32 v2, vcc, s10, v0
	v_addc_co_u32_e32 v3, vcc, v3, v1, vcc
	global_store_dword v[2:3], v4, off
	v_mov_b32_e32 v2, s13
	v_add_co_u32_e32 v0, vcc, s12, v0
	v_addc_co_u32_e32 v1, vcc, v2, v1, vcc
	s_waitcnt lgkmcnt(0)
	global_store_dword v[0:1], v5, off
.LBB7_19:
	s_endpgm
	.section	.rodata,"a",@progbits
	.p2align	6, 0x0
	.amdhsa_kernel _Z6Match8PKfS0_PfPi
		.amdhsa_group_segment_fixed_size 32768
		.amdhsa_private_segment_fixed_size 0
		.amdhsa_kernarg_size 32
		.amdhsa_user_sgpr_count 6
		.amdhsa_user_sgpr_private_segment_buffer 1
		.amdhsa_user_sgpr_dispatch_ptr 0
		.amdhsa_user_sgpr_queue_ptr 0
		.amdhsa_user_sgpr_kernarg_segment_ptr 1
		.amdhsa_user_sgpr_dispatch_id 0
		.amdhsa_user_sgpr_flat_scratch_init 0
		.amdhsa_user_sgpr_private_segment_size 0
		.amdhsa_uses_dynamic_stack 0
		.amdhsa_system_sgpr_private_segment_wavefront_offset 0
		.amdhsa_system_sgpr_workgroup_id_x 1
		.amdhsa_system_sgpr_workgroup_id_y 0
		.amdhsa_system_sgpr_workgroup_id_z 0
		.amdhsa_system_sgpr_workgroup_info 0
		.amdhsa_system_vgpr_workitem_id 1
		.amdhsa_next_free_vgpr 48
		.amdhsa_next_free_sgpr 61
		.amdhsa_reserve_vcc 1
		.amdhsa_reserve_flat_scratch 0
		.amdhsa_float_round_mode_32 0
		.amdhsa_float_round_mode_16_64 0
		.amdhsa_float_denorm_mode_32 3
		.amdhsa_float_denorm_mode_16_64 3
		.amdhsa_dx10_clamp 1
		.amdhsa_ieee_mode 1
		.amdhsa_fp16_overflow 0
		.amdhsa_exception_fp_ieee_invalid_op 0
		.amdhsa_exception_fp_denorm_src 0
		.amdhsa_exception_fp_ieee_div_zero 0
		.amdhsa_exception_fp_ieee_overflow 0
		.amdhsa_exception_fp_ieee_underflow 0
		.amdhsa_exception_fp_ieee_inexact 0
		.amdhsa_exception_int_div_zero 0
	.end_amdhsa_kernel
	.text
.Lfunc_end7:
	.size	_Z6Match8PKfS0_PfPi, .Lfunc_end7-_Z6Match8PKfS0_PfPi
                                        ; -- End function
	.set _Z6Match8PKfS0_PfPi.num_vgpr, 48
	.set _Z6Match8PKfS0_PfPi.num_agpr, 0
	.set _Z6Match8PKfS0_PfPi.numbered_sgpr, 16
	.set _Z6Match8PKfS0_PfPi.num_named_barrier, 0
	.set _Z6Match8PKfS0_PfPi.private_seg_size, 0
	.set _Z6Match8PKfS0_PfPi.uses_vcc, 1
	.set _Z6Match8PKfS0_PfPi.uses_flat_scratch, 0
	.set _Z6Match8PKfS0_PfPi.has_dyn_sized_stack, 0
	.set _Z6Match8PKfS0_PfPi.has_recursion, 0
	.set _Z6Match8PKfS0_PfPi.has_indirect_call, 0
	.section	.AMDGPU.csdata,"",@progbits
; Kernel info:
; codeLenInByte = 1416
; TotalNumSgprs: 20
; NumVgprs: 48
; ScratchSize: 0
; MemoryBound: 0
; FloatMode: 240
; IeeeMode: 1
; LDSByteSize: 32768 bytes/workgroup (compile time only)
; SGPRBlocks: 8
; VGPRBlocks: 11
; NumSGPRsForWavesPerEU: 65
; NumVGPRsForWavesPerEU: 48
; Occupancy: 5
; WaveLimiterHint : 0
; COMPUTE_PGM_RSRC2:SCRATCH_EN: 0
; COMPUTE_PGM_RSRC2:USER_SGPR: 6
; COMPUTE_PGM_RSRC2:TRAP_HANDLER: 0
; COMPUTE_PGM_RSRC2:TGID_X_EN: 1
; COMPUTE_PGM_RSRC2:TGID_Y_EN: 0
; COMPUTE_PGM_RSRC2:TGID_Z_EN: 0
; COMPUTE_PGM_RSRC2:TIDIG_COMP_CNT: 1
	.text
	.protected	_Z6Match9PKfS0_PfPi     ; -- Begin function _Z6Match9PKfS0_PfPi
	.globl	_Z6Match9PKfS0_PfPi
	.p2align	8
	.type	_Z6Match9PKfS0_PfPi,@function
_Z6Match9PKfS0_PfPi:                    ; @_Z6Match9PKfS0_PfPi
; %bb.0:
	s_load_dwordx2 s[2:3], s[4:5], 0x8
	v_or_b32_e32 v2, v0, v1
	v_cmp_gt_u32_e64 s[0:1], 32, v2
	v_cmp_lt_u32_e32 vcc, 31, v2
	v_lshlrev_b32_e32 v2, 9, v1
	s_and_saveexec_b64 s[8:9], vcc
	s_xor_b64 s[8:9], exec, s[8:9]
; %bb.1:
	v_lshlrev_b32_e32 v2, 9, v1
; %bb.2:
	s_or_saveexec_b64 s[12:13], s[8:9]
	s_load_dwordx4 s[8:11], s[4:5], 0x10
	s_lshl_b32 s26, s6, 5
	s_xor_b64 exec, exec, s[12:13]
	s_cbranch_execz .LBB8_18
; %bb.3:
	s_load_dwordx2 s[6:7], s[4:5], 0x0
	v_or_b32_e32 v3, s26, v1
	v_lshl_or_b32 v3, v3, 5, v0
	v_ashrrev_i32_e32 v4, 31, v3
	v_lshlrev_b64 v[3:4], 4, v[3:4]
	s_waitcnt lgkmcnt(0)
	v_mov_b32_e32 v5, s7
	v_add_co_u32_e32 v3, vcc, s6, v3
	v_addc_co_u32_e32 v4, vcc, v5, v4, vcc
	global_load_dwordx4 v[3:6], v[3:4], off
	v_add_u32_e32 v7, v1, v0
	v_and_b32_e32 v7, 31, v7
	v_lshl_or_b32 v7, v7, 4, v2
	v_cmp_gt_u32_e32 vcc, 28, v1
	s_waitcnt vmcnt(0)
	ds_write_b128 v7, v[3:6]
	s_and_saveexec_b64 s[4:5], vcc
	s_xor_b64 s[4:5], exec, s[4:5]
	s_cbranch_execz .LBB8_17
; %bb.4:
	v_add_u32_e32 v7, 4, v1
	v_add_u32_e32 v3, s26, v7
	v_lshl_or_b32 v3, v3, 5, v0
	v_ashrrev_i32_e32 v4, 31, v3
	v_lshlrev_b64 v[3:4], 4, v[3:4]
	v_mov_b32_e32 v5, s7
	v_add_co_u32_e32 v3, vcc, s6, v3
	v_addc_co_u32_e32 v4, vcc, v5, v4, vcc
	global_load_dwordx4 v[3:6], v[3:4], off
	v_add_u32_e32 v8, v7, v0
	v_and_b32_e32 v8, 31, v8
	v_lshlrev_b32_e32 v8, 4, v8
	v_lshl_or_b32 v7, v7, 9, v8
	v_cmp_gt_u32_e32 vcc, 24, v1
	s_waitcnt vmcnt(0)
	ds_write_b128 v7, v[3:6]
	s_and_saveexec_b64 s[14:15], vcc
	s_xor_b64 s[14:15], exec, s[14:15]
	s_cbranch_execz .LBB8_16
; %bb.5:
	v_add_u32_e32 v7, 8, v1
	v_add_u32_e32 v3, s26, v7
	v_lshl_or_b32 v3, v3, 5, v0
	v_ashrrev_i32_e32 v4, 31, v3
	v_lshlrev_b64 v[3:4], 4, v[3:4]
	v_mov_b32_e32 v5, s7
	v_add_co_u32_e32 v3, vcc, s6, v3
	v_addc_co_u32_e32 v4, vcc, v5, v4, vcc
	global_load_dwordx4 v[3:6], v[3:4], off
	v_add_u32_e32 v8, v7, v0
	v_and_b32_e32 v8, 31, v8
	v_lshlrev_b32_e32 v8, 4, v8
	;; [unrolled: 20-line block ×3, first 2 shown]
	v_lshl_or_b32 v7, v7, 9, v8
	v_cmp_gt_u32_e32 vcc, 16, v1
	s_waitcnt vmcnt(0)
	ds_write_b128 v7, v[3:6]
	s_and_saveexec_b64 s[18:19], vcc
	s_xor_b64 s[18:19], exec, s[18:19]
	s_cbranch_execz .LBB8_14
; %bb.7:
	v_or_b32_e32 v7, 16, v1
	v_or_b32_e32 v3, s26, v7
	v_lshl_or_b32 v3, v3, 5, v0
	v_ashrrev_i32_e32 v4, 31, v3
	v_lshlrev_b64 v[3:4], 4, v[3:4]
	v_mov_b32_e32 v5, s7
	v_add_co_u32_e32 v3, vcc, s6, v3
	v_addc_co_u32_e32 v4, vcc, v5, v4, vcc
	global_load_dwordx4 v[3:6], v[3:4], off
	v_add_u32_e32 v8, v7, v0
	v_and_b32_e32 v8, 31, v8
	v_lshlrev_b32_e32 v8, 4, v8
	v_lshl_or_b32 v8, v7, 9, v8
	v_cmp_gt_u32_e32 vcc, 28, v7
	s_waitcnt vmcnt(0)
	ds_write_b128 v8, v[3:6]
	s_and_saveexec_b64 s[20:21], vcc
	s_xor_b64 s[20:21], exec, s[20:21]
	s_cbranch_execz .LBB8_13
; %bb.8:
	v_add_u32_e32 v7, 20, v1
	v_add_u32_e32 v3, s26, v7
	v_lshl_or_b32 v3, v3, 5, v0
	v_ashrrev_i32_e32 v4, 31, v3
	v_lshlrev_b64 v[3:4], 4, v[3:4]
	v_mov_b32_e32 v5, s7
	v_add_co_u32_e32 v3, vcc, s6, v3
	v_addc_co_u32_e32 v4, vcc, v5, v4, vcc
	global_load_dwordx4 v[3:6], v[3:4], off
	v_add_u32_e32 v8, v7, v0
	v_and_b32_e32 v8, 31, v8
	v_lshlrev_b32_e32 v8, 4, v8
	v_lshl_or_b32 v7, v7, 9, v8
	v_cmp_gt_u32_e32 vcc, 8, v1
	s_waitcnt vmcnt(0)
	ds_write_b128 v7, v[3:6]
	s_and_saveexec_b64 s[22:23], vcc
	s_xor_b64 s[22:23], exec, s[22:23]
	s_cbranch_execz .LBB8_12
; %bb.9:
	v_or_b32_e32 v7, 24, v1
	v_or_b32_e32 v3, s26, v7
	v_lshl_or_b32 v3, v3, 5, v0
	v_ashrrev_i32_e32 v4, 31, v3
	v_lshlrev_b64 v[3:4], 4, v[3:4]
	v_mov_b32_e32 v5, s7
	v_add_co_u32_e32 v3, vcc, s6, v3
	v_addc_co_u32_e32 v4, vcc, v5, v4, vcc
	global_load_dwordx4 v[3:6], v[3:4], off
	v_add_u32_e32 v8, v7, v0
	v_and_b32_e32 v8, 31, v8
	v_lshlrev_b32_e32 v8, 4, v8
	v_lshl_or_b32 v8, v7, 9, v8
	v_cmp_gt_u32_e32 vcc, 28, v7
	s_waitcnt vmcnt(0)
	ds_write_b128 v8, v[3:6]
	s_and_saveexec_b64 s[24:25], vcc
	s_xor_b64 s[24:25], exec, s[24:25]
	s_cbranch_execz .LBB8_11
; %bb.10:
	v_add_u32_e32 v7, 28, v1
	v_add_u32_e32 v3, s26, v7
	v_lshl_or_b32 v3, v3, 5, v0
	v_ashrrev_i32_e32 v4, 31, v3
	v_lshlrev_b64 v[3:4], 4, v[3:4]
	v_mov_b32_e32 v5, s7
	v_add_co_u32_e32 v3, vcc, s6, v3
	v_addc_co_u32_e32 v4, vcc, v5, v4, vcc
	global_load_dwordx4 v[3:6], v[3:4], off
	v_add_u32_e32 v8, v7, v0
	v_and_b32_e32 v8, 31, v8
	v_lshlrev_b32_e32 v8, 4, v8
	v_lshl_or_b32 v7, v7, 9, v8
	s_waitcnt vmcnt(0)
	ds_write_b128 v7, v[3:6]
.LBB8_11:
	s_or_b64 exec, exec, s[24:25]
.LBB8_12:
	s_or_b64 exec, exec, s[22:23]
.LBB8_13:
	s_or_b64 exec, exec, s[20:21]
.LBB8_14:
	s_or_b64 exec, exec, s[18:19]
.LBB8_15:
	s_or_b64 exec, exec, s[16:17]
.LBB8_16:
	s_or_b64 exec, exec, s[14:15]
.LBB8_17:
	s_or_b64 exec, exec, s[4:5]
.LBB8_18:
	s_or_b64 exec, exec, s[12:13]
	v_lshl_add_u32 v26, v1, 5, v0
	v_lshlrev_b32_e32 v3, 4, v0
	s_movk_i32 s4, 0x4000
	v_add3_u32 v30, v2, v3, s4
	v_lshlrev_b32_e32 v2, 4, v26
	v_and_b32_e32 v24, 15, v0
	v_lshrrev_b32_e32 v25, 4, v26
	s_waitcnt lgkmcnt(0)
	v_mov_b32_e32 v3, s3
	v_add_co_u32_e32 v22, vcc, s2, v2
	v_mov_b32_e32 v2, 0x4000
	v_lshlrev_b32_e32 v27, 2, v25
	v_lshlrev_b32_e32 v28, 9, v24
	v_add_u32_e32 v29, -4, v1
	v_mov_b32_e32 v32, 0
	v_addc_co_u32_e32 v23, vcc, 0, v3, vcc
	v_lshl_add_u32 v31, v25, 11, v2
	v_mov_b32_e32 v33, -1
	s_mov_b32 s6, 0
	v_mov_b32_e32 v34, 0
	v_mov_b32_e32 v35, -1
	s_and_saveexec_b64 s[2:3], s[0:1]
	s_cbranch_execz .LBB8_21
.LBB8_19:
	v_mov_b32_e32 v2, v22
	s_mov_b64 s[4:5], 0
	v_mov_b32_e32 v3, v23
	v_mov_b32_e32 v4, v30
	;; [unrolled: 1-line block ×3, first 2 shown]
.LBB8_20:                               ; =>This Inner Loop Header: Depth=1
	global_load_dwordx4 v[6:9], v[2:3], off
	v_add_co_u32_e32 v2, vcc, 0x800, v2
	v_add_u32_e32 v5, 4, v5
	v_addc_co_u32_e32 v3, vcc, 0, v3, vcc
	v_cmp_lt_u32_e32 vcc, 27, v5
	s_or_b64 s[4:5], vcc, s[4:5]
	s_waitcnt vmcnt(0)
	ds_write_b128 v4, v[6:9]
	v_add_u32_e32 v4, 0x800, v4
	s_andn2_b64 exec, exec, s[4:5]
	s_cbranch_execnz .LBB8_20
.LBB8_21:                               ; =>This Loop Header: Depth=1
                                        ;     Child Loop BB8_22 Depth 2
	s_or_b64 exec, exec, s[2:3]
	v_mov_b32_e32 v42, 0
	s_mov_b32 s2, 0
	v_mov_b32_e32 v44, v24
	v_mov_b32_e32 v43, 0
	;; [unrolled: 1-line block ×8, first 2 shown]
	s_waitcnt lgkmcnt(0)
	s_barrier
.LBB8_22:                               ;   Parent Loop BB8_21 Depth=1
                                        ; =>  This Inner Loop Header: Depth=2
	v_and_b32_e32 v19, 31, v44
	v_add_u32_e32 v18, s2, v31
	v_lshl_add_u32 v6, v19, 4, v28
	ds_read_b128 v[2:5], v18
	ds_read_b128 v[10:13], v18 offset:512
	ds_read_b128 v[45:48], v18 offset:1024
	ds_read_b128 v[14:17], v6
	ds_read_b128 v[6:9], v18 offset:1536
	s_add_i32 s2, s2, 32
	s_cmpk_eq_i32 s2, 0x200
	s_waitcnt lgkmcnt(1)
	v_fmac_f32_e32 v42, v2, v14
	v_fmac_f32_e32 v41, v10, v14
	;; [unrolled: 1-line block ×3, first 2 shown]
	s_waitcnt lgkmcnt(0)
	v_fmac_f32_e32 v37, v6, v14
	v_fmac_f32_e32 v42, v3, v15
	;; [unrolled: 1-line block ×5, first 2 shown]
	v_xor_b32_e32 v14, 16, v19
	v_fmac_f32_e32 v42, v4, v16
	v_fmac_f32_e32 v41, v12, v16
	v_fmac_f32_e32 v39, v47, v16
	v_fmac_f32_e32 v37, v8, v16
	v_lshl_add_u32 v14, v14, 4, v28
	v_fmac_f32_e32 v42, v5, v17
	v_fmac_f32_e32 v41, v13, v17
	;; [unrolled: 1-line block ×4, first 2 shown]
	ds_read_b128 v[14:17], v14 offset:8192
	s_waitcnt lgkmcnt(0)
	v_fmac_f32_e32 v43, v2, v14
	v_add_u32_e32 v2, 1, v44
	v_fmac_f32_e32 v40, v10, v14
	v_fmac_f32_e32 v38, v45, v14
	v_fmac_f32_e32 v36, v6, v14
	v_fmac_f32_e32 v43, v3, v15
	v_fmac_f32_e32 v40, v11, v15
	v_and_b32_e32 v19, 31, v2
	v_fmac_f32_e32 v38, v46, v15
	v_fmac_f32_e32 v36, v7, v15
	;; [unrolled: 1-line block ×6, first 2 shown]
	v_lshl_add_u32 v14, v19, 4, v28
	v_fmac_f32_e32 v43, v5, v17
	v_fmac_f32_e32 v40, v13, v17
	ds_read_b128 v[10:13], v18 offset:16
	v_fmac_f32_e32 v38, v48, v17
	ds_read_b128 v[2:5], v18 offset:528
	;; [unrolled: 2-line block ×3, first 2 shown]
	ds_read_b128 v[45:48], v14
	ds_read_b128 v[14:17], v18 offset:1552
	v_xor_b32_e32 v18, 16, v19
	v_lshl_add_u32 v18, v18, 4, v28
	ds_read_b128 v[18:21], v18 offset:8192
	s_waitcnt lgkmcnt(2)
	v_fmac_f32_e32 v42, v10, v45
	v_fmac_f32_e32 v41, v2, v45
	;; [unrolled: 1-line block ×3, first 2 shown]
	s_waitcnt lgkmcnt(1)
	v_fmac_f32_e32 v37, v14, v45
	s_waitcnt lgkmcnt(0)
	v_fmac_f32_e32 v43, v10, v18
	v_fmac_f32_e32 v40, v2, v18
	;; [unrolled: 1-line block ×25, first 2 shown]
	v_add_u32_e32 v44, 2, v44
	v_fmac_f32_e32 v40, v5, v21
	v_fmac_f32_e32 v38, v9, v21
	;; [unrolled: 1-line block ×3, first 2 shown]
	s_cbranch_scc0 .LBB8_22
; %bb.23:                               ;   in Loop: Header=BB8_21 Depth=1
	v_add_u32_e32 v2, s6, v27
	v_cmp_gt_f32_e32 vcc, v42, v32
	v_cndmask_b32_e32 v3, v33, v2, vcc
	v_cndmask_b32_e32 v4, v32, v42, vcc
	v_cmp_gt_f32_e32 vcc, v43, v34
	v_cndmask_b32_e32 v5, v35, v2, vcc
	v_cndmask_b32_e32 v6, v34, v43, vcc
	v_or_b32_e32 v7, 1, v2
	v_cmp_gt_f32_e32 vcc, v41, v4
	v_cndmask_b32_e32 v3, v3, v7, vcc
	v_cndmask_b32_e32 v4, v4, v41, vcc
	v_cmp_gt_f32_e32 vcc, v40, v6
	v_cndmask_b32_e32 v5, v5, v7, vcc
	v_cndmask_b32_e32 v6, v6, v40, vcc
	v_or_b32_e32 v7, 2, v2
	;; [unrolled: 7-line block ×3, first 2 shown]
	v_cmp_gt_f32_e32 vcc, v37, v4
	v_cndmask_b32_e32 v33, v3, v2, vcc
	v_cndmask_b32_e32 v32, v4, v37, vcc
	v_cmp_gt_f32_e32 vcc, v36, v6
	v_cndmask_b32_e32 v35, v5, v2, vcc
	v_cndmask_b32_e32 v34, v6, v36, vcc
	s_add_i32 s2, s6, 32
	v_add_co_u32_e32 v22, vcc, 0x4000, v22
	s_cmpk_gt_u32 s6, 0x3fdf
	v_addc_co_u32_e32 v23, vcc, 0, v23, vcc
	s_barrier
	s_cbranch_scc1 .LBB8_25
; %bb.24:                               ;   in Loop: Header=BB8_21 Depth=1
	s_mov_b32 s6, s2
	s_and_saveexec_b64 s[2:3], s[0:1]
	s_cbranch_execnz .LBB8_19
	s_branch .LBB8_21
.LBB8_25:
	s_movk_i32 s0, 0x80
	v_cmp_gt_u32_e32 vcc, s0, v26
	s_and_saveexec_b64 s[0:1], vcc
	s_cbranch_execz .LBB8_27
; %bb.26:
	v_lshlrev_b32_e32 v2, 2, v24
	v_lshl_or_b32 v2, v25, 7, v2
	ds_write2_b32 v2, v32, v34 offset1:16
	v_add_u32_e32 v2, 0x400, v2
	ds_write2_b32 v2, v33, v35 offset1:16
.LBB8_27:
	s_or_b64 exec, exec, s[0:1]
	v_cmp_eq_u32_e32 vcc, 0, v1
	s_waitcnt lgkmcnt(0)
	s_barrier
	s_and_saveexec_b64 s[0:1], vcc
	s_cbranch_execz .LBB8_29
; %bb.28:
	v_lshlrev_b32_e32 v5, 2, v0
	ds_read2_b32 v[1:2], v5 offset1:32
	ds_read2_b32 v[3:4], v5 offset0:64 offset1:96
	v_add_u32_e32 v6, 32, v0
	v_add_u32_e32 v7, 64, v0
	s_waitcnt lgkmcnt(1)
	v_cmp_gt_f32_e32 vcc, v2, v1
	v_cndmask_b32_e32 v1, v1, v2, vcc
	v_cndmask_b32_e32 v2, v0, v6, vcc
	s_waitcnt lgkmcnt(0)
	v_cmp_gt_f32_e32 vcc, v3, v1
	v_cndmask_b32_e32 v3, v1, v3, vcc
	v_cndmask_b32_e32 v6, v2, v7, vcc
	ds_read2_b32 v[1:2], v5 offset0:128 offset1:160
	v_cmp_gt_f32_e32 vcc, v4, v3
	v_add_u32_e32 v7, 0x60, v0
	v_cndmask_b32_e32 v3, v3, v4, vcc
	v_cndmask_b32_e32 v4, v6, v7, vcc
	v_add_u32_e32 v6, 0x80, v0
	s_waitcnt lgkmcnt(0)
	v_cmp_gt_f32_e32 vcc, v1, v3
	v_cndmask_b32_e32 v1, v3, v1, vcc
	v_cndmask_b32_e32 v6, v4, v6, vcc
	ds_read2_b32 v[3:4], v5 offset0:192 offset1:224
	v_cmp_gt_f32_e32 vcc, v2, v1
	v_add_u32_e32 v7, 0xa0, v0
	v_cndmask_b32_e32 v1, v1, v2, vcc
	v_cndmask_b32_e32 v2, v6, v7, vcc
	s_waitcnt lgkmcnt(0)
	v_cmp_gt_f32_e32 vcc, v3, v1
	v_add_u32_e32 v5, 0xc0, v0
	v_cndmask_b32_e32 v1, v1, v3, vcc
	v_cndmask_b32_e32 v2, v2, v5, vcc
	v_add_u32_e32 v3, 0xe0, v0
	v_cmp_gt_f32_e32 vcc, v4, v1
	v_cndmask_b32_e32 v4, v1, v4, vcc
	v_cndmask_b32_e32 v1, v2, v3, vcc
	v_lshlrev_b32_e32 v1, 2, v1
	v_add_u32_e32 v0, s26, v0
	ds_read_b32 v5, v1 offset:1024
	v_ashrrev_i32_e32 v1, 31, v0
	v_lshlrev_b64 v[0:1], 2, v[0:1]
	v_mov_b32_e32 v3, s9
	v_add_co_u32_e32 v2, vcc, s8, v0
	v_addc_co_u32_e32 v3, vcc, v3, v1, vcc
	global_store_dword v[2:3], v4, off
	v_mov_b32_e32 v2, s11
	v_add_co_u32_e32 v0, vcc, s10, v0
	v_addc_co_u32_e32 v1, vcc, v2, v1, vcc
	s_waitcnt lgkmcnt(0)
	global_store_dword v[0:1], v5, off
.LBB8_29:
	s_endpgm
	.section	.rodata,"a",@progbits
	.p2align	6, 0x0
	.amdhsa_kernel _Z6Match9PKfS0_PfPi
		.amdhsa_group_segment_fixed_size 32768
		.amdhsa_private_segment_fixed_size 0
		.amdhsa_kernarg_size 32
		.amdhsa_user_sgpr_count 6
		.amdhsa_user_sgpr_private_segment_buffer 1
		.amdhsa_user_sgpr_dispatch_ptr 0
		.amdhsa_user_sgpr_queue_ptr 0
		.amdhsa_user_sgpr_kernarg_segment_ptr 1
		.amdhsa_user_sgpr_dispatch_id 0
		.amdhsa_user_sgpr_flat_scratch_init 0
		.amdhsa_user_sgpr_private_segment_size 0
		.amdhsa_uses_dynamic_stack 0
		.amdhsa_system_sgpr_private_segment_wavefront_offset 0
		.amdhsa_system_sgpr_workgroup_id_x 1
		.amdhsa_system_sgpr_workgroup_id_y 0
		.amdhsa_system_sgpr_workgroup_id_z 0
		.amdhsa_system_sgpr_workgroup_info 0
		.amdhsa_system_vgpr_workitem_id 1
		.amdhsa_next_free_vgpr 49
		.amdhsa_next_free_sgpr 61
		.amdhsa_reserve_vcc 1
		.amdhsa_reserve_flat_scratch 0
		.amdhsa_float_round_mode_32 0
		.amdhsa_float_round_mode_16_64 0
		.amdhsa_float_denorm_mode_32 3
		.amdhsa_float_denorm_mode_16_64 3
		.amdhsa_dx10_clamp 1
		.amdhsa_ieee_mode 1
		.amdhsa_fp16_overflow 0
		.amdhsa_exception_fp_ieee_invalid_op 0
		.amdhsa_exception_fp_denorm_src 0
		.amdhsa_exception_fp_ieee_div_zero 0
		.amdhsa_exception_fp_ieee_overflow 0
		.amdhsa_exception_fp_ieee_underflow 0
		.amdhsa_exception_fp_ieee_inexact 0
		.amdhsa_exception_int_div_zero 0
	.end_amdhsa_kernel
	.text
.Lfunc_end8:
	.size	_Z6Match9PKfS0_PfPi, .Lfunc_end8-_Z6Match9PKfS0_PfPi
                                        ; -- End function
	.set _Z6Match9PKfS0_PfPi.num_vgpr, 49
	.set _Z6Match9PKfS0_PfPi.num_agpr, 0
	.set _Z6Match9PKfS0_PfPi.numbered_sgpr, 27
	.set _Z6Match9PKfS0_PfPi.num_named_barrier, 0
	.set _Z6Match9PKfS0_PfPi.private_seg_size, 0
	.set _Z6Match9PKfS0_PfPi.uses_vcc, 1
	.set _Z6Match9PKfS0_PfPi.uses_flat_scratch, 0
	.set _Z6Match9PKfS0_PfPi.has_dyn_sized_stack, 0
	.set _Z6Match9PKfS0_PfPi.has_recursion, 0
	.set _Z6Match9PKfS0_PfPi.has_indirect_call, 0
	.section	.AMDGPU.csdata,"",@progbits
; Kernel info:
; codeLenInByte = 2032
; TotalNumSgprs: 31
; NumVgprs: 49
; ScratchSize: 0
; MemoryBound: 0
; FloatMode: 240
; IeeeMode: 1
; LDSByteSize: 32768 bytes/workgroup (compile time only)
; SGPRBlocks: 8
; VGPRBlocks: 12
; NumSGPRsForWavesPerEU: 65
; NumVGPRsForWavesPerEU: 49
; Occupancy: 4
; WaveLimiterHint : 0
; COMPUTE_PGM_RSRC2:SCRATCH_EN: 0
; COMPUTE_PGM_RSRC2:USER_SGPR: 6
; COMPUTE_PGM_RSRC2:TRAP_HANDLER: 0
; COMPUTE_PGM_RSRC2:TGID_X_EN: 1
; COMPUTE_PGM_RSRC2:TGID_Y_EN: 0
; COMPUTE_PGM_RSRC2:TGID_Z_EN: 0
; COMPUTE_PGM_RSRC2:TIDIG_COMP_CNT: 1
	.text
	.protected	_Z7Match10PKfS0_PfPi    ; -- Begin function _Z7Match10PKfS0_PfPi
	.globl	_Z7Match10PKfS0_PfPi
	.p2align	8
	.type	_Z7Match10PKfS0_PfPi,@function
_Z7Match10PKfS0_PfPi:                   ; @_Z7Match10PKfS0_PfPi
; %bb.0:
	v_or_b32_e32 v2, v0, v1
	v_cmp_lt_u32_e32 vcc, 31, v2
	v_lshlrev_b32_e32 v2, 5, v1
	s_and_saveexec_b64 s[0:1], vcc
	s_xor_b64 s[0:1], exec, s[0:1]
; %bb.1:
	v_lshlrev_b32_e32 v2, 5, v1
; %bb.2:
	s_or_saveexec_b64 s[0:1], s[0:1]
	s_load_dwordx4 s[8:11], s[4:5], 0x8
	s_load_dwordx2 s[2:3], s[4:5], 0x18
	s_xor_b64 exec, exec, s[0:1]
	s_cbranch_execz .LBB9_6
; %bb.3:
	s_load_dwordx2 s[4:5], s[4:5], 0x0
	v_lshlrev_b32_e32 v3, 9, v1
	v_add_u32_e32 v4, v1, v0
	v_lshl_add_u32 v5, s6, 10, v2
	s_mov_b64 s[12:13], 0
	s_waitcnt lgkmcnt(0)
	v_mov_b32_e32 v6, s5
	v_mov_b32_e32 v7, v1
.LBB9_4:                                ; =>This Inner Loop Header: Depth=1
	v_add_u32_e32 v8, v0, v5
	v_ashrrev_i32_e32 v9, 31, v8
	v_lshlrev_b64 v[8:9], 4, v[8:9]
	v_and_b32_e32 v12, 31, v4
	v_add_co_u32_e32 v8, vcc, s4, v8
	v_addc_co_u32_e32 v9, vcc, v6, v9, vcc
	global_load_dwordx4 v[8:11], v[8:9], off
	v_add_u32_e32 v13, 8, v7
	v_cmp_lt_u32_e32 vcc, 23, v7
	v_add_u16_e32 v4, 8, v4
	v_add_u32_e32 v5, 0x100, v5
	v_lshl_add_u32 v12, v12, 4, v3
	v_add_u32_e32 v3, 0x1000, v3
	s_or_b64 s[12:13], vcc, s[12:13]
	v_mov_b32_e32 v7, v13
	s_waitcnt vmcnt(0)
	ds_write_b128 v12, v[8:11]
	s_andn2_b64 exec, exec, s[12:13]
	s_cbranch_execnz .LBB9_4
; %bb.5:
	s_or_b64 exec, exec, s[12:13]
.LBB9_6:
	s_or_b64 exec, exec, s[0:1]
	v_add_u32_e32 v2, v2, v0
	v_and_b32_e32 v25, 7, v0
	v_lshrrev_b32_e32 v26, 3, v2
	s_mov_b32 s0, 0xfff8
	v_and_or_b32 v3, v2, s0, v25
	v_mov_b32_e32 v4, 0x4000
	s_movk_i32 s4, 0x80
	v_lshl_or_b32 v17, v26, 5, v25
	v_mov_b32_e32 v18, 0
	v_lshrrev_b32_e32 v24, 4, v2
	v_lshl_add_u32 v27, v3, 4, v4
	v_cmp_gt_u32_e64 s[0:1], s4, v2
	v_lshlrev_b64 v[2:3], 4, v[17:18]
	s_waitcnt lgkmcnt(0)
	v_mov_b32_e32 v31, s9
	v_add_co_u32_e32 v2, vcc, s8, v2
	v_addc_co_u32_e32 v3, vcc, v31, v3, vcc
	v_and_b32_e32 v23, 15, v0
	v_add_co_u32_e32 v19, vcc, s4, v2
	v_lshl_add_u32 v28, v24, 9, v4
	v_lshlrev_b32_e32 v29, 2, v24
	v_lshlrev_b32_e32 v30, 9, v23
	v_addc_co_u32_e32 v20, vcc, 0, v3, vcc
	v_mov_b32_e32 v32, -1
	s_mov_b32 s7, 0
                                        ; implicit-def: $vgpr2_vgpr3_vgpr4_vgpr5
	v_mov_b32_e32 v33, 0
	v_mov_b32_e32 v34, 0
	v_mov_b32_e32 v35, -1
.LBB9_7:                                ; =>This Loop Header: Depth=1
                                        ;     Child Loop BB9_9 Depth 2
	v_add_u32_e32 v6, s7, v26
	v_lshl_or_b32 v17, v6, 5, v25
	v_lshlrev_b64 v[6:7], 4, v[17:18]
	v_mov_b32_e32 v22, v20
	v_add_co_u32_e32 v6, vcc, s8, v6
	v_addc_co_u32_e32 v7, vcc, v31, v7, vcc
	global_load_dwordx4 v[6:9], v[6:7], off
	v_mov_b32_e32 v21, v19
	v_mov_b32_e32 v36, 0
	;; [unrolled: 1-line block ×9, first 2 shown]
	s_mov_b32 s9, 0
	s_waitcnt vmcnt(0)
	ds_write_b128 v27, v[6:9]
	s_waitcnt lgkmcnt(0)
	s_barrier
	s_branch .LBB9_9
.LBB9_8:                                ;   in Loop: Header=BB9_9 Depth=2
	v_add_co_u32_e32 v21, vcc, 0x80, v21
	v_addc_co_u32_e32 v22, vcc, 0, v22, vcc
	s_add_i32 s9, s9, 8
	s_and_b64 vcc, exec, s[4:5]
	s_cbranch_vccnz .LBB9_15
.LBB9_9:                                ;   Parent Loop BB9_7 Depth=1
                                        ; =>  This Inner Loop Header: Depth=2
	s_cmp_lt_u32 s9, 24
	s_cselect_b64 s[12:13], -1, 0
	s_cmp_gt_u32 s9, 23
	s_cselect_b64 s[4:5], -1, 0
	s_and_b64 vcc, exec, s[4:5]
	s_cbranch_vccnz .LBB9_11
; %bb.10:                               ;   in Loop: Header=BB9_9 Depth=2
	global_load_dwordx4 v[2:5], v[21:22], off
.LBB9_11:                               ;   in Loop: Header=BB9_9 Depth=2
	s_and_saveexec_b64 s[14:15], s[0:1]
	s_cbranch_execz .LBB9_13
; %bb.12:                               ;   in Loop: Header=BB9_9 Depth=2
	v_add_u32_e32 v44, s9, v23
	v_and_b32_e32 v6, 31, v44
	v_lshl_add_u32 v7, v6, 4, v30
	v_xor_b32_e32 v6, 16, v6
	ds_read_b128 v[10:13], v7
	ds_read_b128 v[45:48], v28
	v_lshl_add_u32 v6, v6, 4, v30
	ds_read_b128 v[14:17], v6 offset:8192
	ds_read_b128 v[6:9], v28 offset:16
	;; [unrolled: 1-line block ×4, first 2 shown]
	s_waitcnt lgkmcnt(4)
	v_fmac_f32_e32 v43, v45, v10
	s_waitcnt lgkmcnt(3)
	v_fmac_f32_e32 v42, v45, v14
	v_fmac_f32_e32 v43, v46, v11
	;; [unrolled: 1-line block ×7, first 2 shown]
	ds_read_b128 v[45:48], v28 offset:144
	s_waitcnt lgkmcnt(2)
	v_fmac_f32_e32 v41, v49, v10
	v_fmac_f32_e32 v40, v49, v14
	;; [unrolled: 1-line block ×4, first 2 shown]
	ds_read_b128 v[57:60], v28 offset:384
	v_fmac_f32_e32 v41, v51, v12
	v_fmac_f32_e32 v40, v51, v16
	v_fmac_f32_e32 v41, v52, v13
	v_fmac_f32_e32 v40, v52, v17
	ds_read_b128 v[49:52], v28 offset:272
	s_waitcnt lgkmcnt(3)
	v_fmac_f32_e32 v39, v53, v10
	v_fmac_f32_e32 v38, v53, v14
	;; [unrolled: 1-line block ×8, first 2 shown]
	ds_read_b128 v[53:56], v28 offset:400
	s_waitcnt lgkmcnt(2)
	v_fmac_f32_e32 v37, v57, v10
	v_fmac_f32_e32 v36, v57, v14
	v_add_u32_e32 v10, 1, v44
	v_add_u32_e32 v14, 17, v44
	v_fmac_f32_e32 v37, v58, v11
	v_fmac_f32_e32 v36, v58, v15
	v_and_b32_e32 v10, 31, v10
	v_and_b32_e32 v14, 31, v14
	v_fmac_f32_e32 v37, v59, v12
	v_fmac_f32_e32 v36, v59, v16
	v_lshl_add_u32 v10, v10, 4, v30
	v_lshl_add_u32 v14, v14, 4, v30
	v_fmac_f32_e32 v37, v60, v13
	v_fmac_f32_e32 v36, v60, v17
	ds_read_b128 v[10:13], v10
	ds_read_b128 v[14:17], v14 offset:8192
	s_waitcnt lgkmcnt(1)
	v_fmac_f32_e32 v43, v6, v10
	s_waitcnt lgkmcnt(0)
	v_fmac_f32_e32 v42, v6, v14
	v_fmac_f32_e32 v41, v45, v10
	;; [unrolled: 1-line block ×7, first 2 shown]
	v_add_u32_e32 v10, 2, v44
	v_add_u32_e32 v14, 18, v44
	v_fmac_f32_e32 v43, v7, v11
	v_fmac_f32_e32 v42, v7, v15
	;; [unrolled: 1-line block ×8, first 2 shown]
	v_and_b32_e32 v10, 31, v10
	v_and_b32_e32 v14, 31, v14
	v_fmac_f32_e32 v43, v8, v12
	v_fmac_f32_e32 v42, v8, v16
	v_fmac_f32_e32 v41, v47, v12
	v_fmac_f32_e32 v40, v47, v16
	v_fmac_f32_e32 v39, v51, v12
	v_fmac_f32_e32 v38, v51, v16
	v_fmac_f32_e32 v37, v55, v12
	v_fmac_f32_e32 v36, v55, v16
	v_lshl_add_u32 v10, v10, 4, v30
	v_lshl_add_u32 v14, v14, 4, v30
	v_fmac_f32_e32 v43, v9, v13
	v_fmac_f32_e32 v42, v9, v17
	;; [unrolled: 1-line block ×7, first 2 shown]
	ds_read_b128 v[45:48], v28 offset:32
	ds_read_b128 v[6:9], v28 offset:48
	v_fmac_f32_e32 v36, v56, v17
	ds_read_b128 v[10:13], v10
	ds_read_b128 v[14:17], v14 offset:8192
	ds_read_b128 v[49:52], v28 offset:160
	;; [unrolled: 1-line block ×4, first 2 shown]
	s_waitcnt lgkmcnt(4)
	v_fmac_f32_e32 v43, v45, v10
	s_waitcnt lgkmcnt(3)
	v_fmac_f32_e32 v42, v45, v14
	v_fmac_f32_e32 v43, v46, v11
	v_fmac_f32_e32 v42, v46, v15
	v_fmac_f32_e32 v43, v47, v12
	v_fmac_f32_e32 v42, v47, v16
	v_fmac_f32_e32 v43, v48, v13
	v_fmac_f32_e32 v42, v48, v17
	ds_read_b128 v[45:48], v28 offset:176
	s_waitcnt lgkmcnt(3)
	v_fmac_f32_e32 v41, v49, v10
	v_fmac_f32_e32 v40, v49, v14
	v_fmac_f32_e32 v41, v50, v11
	v_fmac_f32_e32 v40, v50, v15
	v_fmac_f32_e32 v41, v51, v12
	v_fmac_f32_e32 v40, v51, v16
	v_fmac_f32_e32 v41, v52, v13
	v_fmac_f32_e32 v40, v52, v17
	ds_read_b128 v[49:52], v28 offset:304
	s_waitcnt lgkmcnt(3)
	v_fmac_f32_e32 v39, v53, v10
	;; [unrolled: 10-line block ×3, first 2 shown]
	v_fmac_f32_e32 v36, v57, v14
	v_add_u32_e32 v10, 3, v44
	v_add_u32_e32 v14, 19, v44
	v_fmac_f32_e32 v37, v58, v11
	v_fmac_f32_e32 v36, v58, v15
	v_and_b32_e32 v10, 31, v10
	v_and_b32_e32 v14, 31, v14
	v_fmac_f32_e32 v37, v59, v12
	v_fmac_f32_e32 v36, v59, v16
	v_lshl_add_u32 v10, v10, 4, v30
	v_lshl_add_u32 v14, v14, 4, v30
	v_fmac_f32_e32 v37, v60, v13
	v_fmac_f32_e32 v36, v60, v17
	ds_read_b128 v[10:13], v10
	ds_read_b128 v[14:17], v14 offset:8192
	s_waitcnt lgkmcnt(1)
	v_fmac_f32_e32 v43, v6, v10
	s_waitcnt lgkmcnt(0)
	v_fmac_f32_e32 v42, v6, v14
	v_fmac_f32_e32 v41, v45, v10
	;; [unrolled: 1-line block ×3, first 2 shown]
	v_add_u32_e32 v6, 4, v44
	v_fmac_f32_e32 v43, v7, v11
	v_fmac_f32_e32 v42, v7, v15
	;; [unrolled: 1-line block ×8, first 2 shown]
	v_and_b32_e32 v6, 31, v6
	v_add_u32_e32 v10, 20, v44
	v_fmac_f32_e32 v43, v8, v12
	v_fmac_f32_e32 v42, v8, v16
	;; [unrolled: 1-line block ×8, first 2 shown]
	v_lshl_add_u32 v6, v6, 4, v30
	v_and_b32_e32 v10, 31, v10
	v_fmac_f32_e32 v43, v9, v13
	v_fmac_f32_e32 v42, v9, v17
	;; [unrolled: 1-line block ×8, first 2 shown]
	ds_read_b128 v[6:9], v6
	ds_read_b128 v[45:48], v28 offset:64
	v_lshl_add_u32 v10, v10, 4, v30
	v_fmac_f32_e32 v39, v52, v13
	v_fmac_f32_e32 v38, v52, v17
	;; [unrolled: 1-line block ×4, first 2 shown]
	ds_read_b128 v[10:13], v10 offset:8192
	ds_read_b128 v[14:17], v28 offset:80
	;; [unrolled: 1-line block ×3, first 2 shown]
	s_waitcnt lgkmcnt(3)
	v_fmac_f32_e32 v43, v45, v6
	v_fmac_f32_e32 v43, v46, v7
	s_waitcnt lgkmcnt(2)
	v_fmac_f32_e32 v42, v45, v10
	v_fmac_f32_e32 v42, v46, v11
	ds_read_b128 v[53:56], v28 offset:320
	v_fmac_f32_e32 v43, v47, v8
	v_fmac_f32_e32 v42, v47, v12
	v_fmac_f32_e32 v43, v48, v9
	v_fmac_f32_e32 v42, v48, v13
	ds_read_b128 v[45:48], v28 offset:208
	s_waitcnt lgkmcnt(2)
	v_fmac_f32_e32 v41, v49, v6
	v_fmac_f32_e32 v40, v49, v10
	;; [unrolled: 1-line block ×4, first 2 shown]
	ds_read_b128 v[57:60], v28 offset:448
	v_fmac_f32_e32 v41, v51, v8
	v_fmac_f32_e32 v40, v51, v12
	;; [unrolled: 1-line block ×4, first 2 shown]
	ds_read_b128 v[49:52], v28 offset:336
	s_waitcnt lgkmcnt(3)
	v_fmac_f32_e32 v39, v53, v6
	v_fmac_f32_e32 v38, v53, v10
	;; [unrolled: 1-line block ×8, first 2 shown]
	ds_read_b128 v[53:56], v28 offset:464
	s_waitcnt lgkmcnt(2)
	v_fmac_f32_e32 v37, v57, v6
	v_fmac_f32_e32 v36, v57, v10
	v_add_u32_e32 v6, 5, v44
	v_add_u32_e32 v10, 21, v44
	v_fmac_f32_e32 v37, v58, v7
	v_fmac_f32_e32 v36, v58, v11
	v_and_b32_e32 v6, 31, v6
	v_and_b32_e32 v10, 31, v10
	v_fmac_f32_e32 v37, v59, v8
	v_fmac_f32_e32 v36, v59, v12
	v_lshl_add_u32 v6, v6, 4, v30
	v_lshl_add_u32 v10, v10, 4, v30
	v_fmac_f32_e32 v37, v60, v9
	v_fmac_f32_e32 v36, v60, v13
	ds_read_b128 v[6:9], v6
	ds_read_b128 v[10:13], v10 offset:8192
	s_waitcnt lgkmcnt(1)
	v_fmac_f32_e32 v43, v14, v6
	v_fmac_f32_e32 v41, v45, v6
	s_waitcnt lgkmcnt(0)
	v_fmac_f32_e32 v40, v45, v10
	v_fmac_f32_e32 v39, v49, v6
	;; [unrolled: 1-line block ×3, first 2 shown]
	v_add_u32_e32 v6, 6, v44
	v_fmac_f32_e32 v43, v15, v7
	v_fmac_f32_e32 v42, v14, v10
	;; [unrolled: 1-line block ×8, first 2 shown]
	v_and_b32_e32 v6, 31, v6
	v_add_u32_e32 v10, 22, v44
	v_fmac_f32_e32 v43, v16, v8
	v_fmac_f32_e32 v42, v15, v11
	;; [unrolled: 1-line block ×8, first 2 shown]
	v_lshl_add_u32 v6, v6, 4, v30
	v_and_b32_e32 v10, 31, v10
	v_fmac_f32_e32 v43, v17, v9
	v_fmac_f32_e32 v42, v16, v12
	;; [unrolled: 1-line block ×8, first 2 shown]
	ds_read_b128 v[6:9], v6
	ds_read_b128 v[45:48], v28 offset:96
	v_lshl_add_u32 v10, v10, 4, v30
	v_fmac_f32_e32 v42, v17, v13
	v_fmac_f32_e32 v38, v52, v13
	;; [unrolled: 1-line block ×3, first 2 shown]
	ds_read_b128 v[10:13], v10 offset:8192
	ds_read_b128 v[14:17], v28 offset:112
	;; [unrolled: 1-line block ×3, first 2 shown]
	s_waitcnt lgkmcnt(3)
	v_fmac_f32_e32 v43, v45, v6
	v_fmac_f32_e32 v43, v46, v7
	s_waitcnt lgkmcnt(2)
	v_fmac_f32_e32 v42, v45, v10
	v_fmac_f32_e32 v42, v46, v11
	ds_read_b128 v[53:56], v28 offset:352
	v_fmac_f32_e32 v43, v47, v8
	v_fmac_f32_e32 v42, v47, v12
	;; [unrolled: 1-line block ×4, first 2 shown]
	ds_read_b128 v[45:48], v28 offset:240
	s_waitcnt lgkmcnt(2)
	v_fmac_f32_e32 v41, v49, v6
	v_fmac_f32_e32 v40, v49, v10
	;; [unrolled: 1-line block ×4, first 2 shown]
	ds_read_b128 v[57:60], v28 offset:480
	v_fmac_f32_e32 v41, v51, v8
	v_fmac_f32_e32 v40, v51, v12
	;; [unrolled: 1-line block ×4, first 2 shown]
	ds_read_b128 v[49:52], v28 offset:368
	s_waitcnt lgkmcnt(3)
	v_fmac_f32_e32 v39, v53, v6
	v_fmac_f32_e32 v38, v53, v10
	;; [unrolled: 1-line block ×8, first 2 shown]
	ds_read_b128 v[53:56], v28 offset:496
	s_waitcnt lgkmcnt(2)
	v_fmac_f32_e32 v37, v57, v6
	v_fmac_f32_e32 v36, v57, v10
	v_add_u32_e32 v6, 7, v44
	v_add_u32_e32 v10, 23, v44
	v_fmac_f32_e32 v37, v58, v7
	v_fmac_f32_e32 v36, v58, v11
	v_and_b32_e32 v6, 31, v6
	v_and_b32_e32 v10, 31, v10
	v_fmac_f32_e32 v37, v59, v8
	v_fmac_f32_e32 v36, v59, v12
	v_lshl_add_u32 v6, v6, 4, v30
	v_lshl_add_u32 v10, v10, 4, v30
	v_fmac_f32_e32 v37, v60, v9
	v_fmac_f32_e32 v36, v60, v13
	ds_read_b128 v[6:9], v6
	ds_read_b128 v[10:13], v10 offset:8192
	s_waitcnt lgkmcnt(1)
	v_fmac_f32_e32 v43, v14, v6
	s_waitcnt lgkmcnt(0)
	v_fmac_f32_e32 v42, v14, v10
	v_fmac_f32_e32 v41, v45, v6
	;; [unrolled: 1-line block ×31, first 2 shown]
.LBB9_13:                               ;   in Loop: Header=BB9_9 Depth=2
	s_or_b64 exec, exec, s[14:15]
	s_andn2_b64 vcc, exec, s[12:13]
	s_waitcnt vmcnt(0)
	s_barrier
	s_cbranch_vccnz .LBB9_8
; %bb.14:                               ;   in Loop: Header=BB9_9 Depth=2
	ds_write_b128 v27, v[2:5]
	s_waitcnt lgkmcnt(0)
	s_barrier
	s_branch .LBB9_8
.LBB9_15:                               ;   in Loop: Header=BB9_7 Depth=1
	v_add_u32_e32 v6, s7, v29
	v_cmp_gt_f32_e32 vcc, v43, v33
	v_cndmask_b32_e32 v7, v32, v6, vcc
	v_cndmask_b32_e32 v8, v33, v43, vcc
	v_cmp_gt_f32_e32 vcc, v42, v34
	v_cndmask_b32_e32 v9, v35, v6, vcc
	v_cndmask_b32_e32 v10, v34, v42, vcc
	v_or_b32_e32 v11, 1, v6
	v_cmp_gt_f32_e32 vcc, v41, v8
	v_cndmask_b32_e32 v7, v7, v11, vcc
	v_cndmask_b32_e32 v8, v8, v41, vcc
	v_cmp_gt_f32_e32 vcc, v40, v10
	v_cndmask_b32_e32 v9, v9, v11, vcc
	v_cndmask_b32_e32 v10, v10, v40, vcc
	v_or_b32_e32 v11, 2, v6
	;; [unrolled: 7-line block ×3, first 2 shown]
	v_cmp_gt_f32_e32 vcc, v37, v8
	v_cndmask_b32_e32 v32, v7, v6, vcc
	v_cndmask_b32_e32 v33, v8, v37, vcc
	v_cmp_gt_f32_e32 vcc, v36, v10
	v_cndmask_b32_e32 v35, v9, v6, vcc
	v_cndmask_b32_e32 v34, v10, v36, vcc
	s_add_i32 s4, s7, 32
	v_add_co_u32_e32 v19, vcc, 0x4000, v19
	s_cmpk_gt_u32 s7, 0x3fdf
	v_addc_co_u32_e32 v20, vcc, 0, v20, vcc
	s_barrier
	s_cbranch_scc1 .LBB9_17
; %bb.16:                               ;   in Loop: Header=BB9_7 Depth=1
	s_mov_b32 s7, s4
	s_branch .LBB9_7
.LBB9_17:
	s_and_saveexec_b64 s[4:5], s[0:1]
	s_cbranch_execz .LBB9_19
; %bb.18:
	v_lshlrev_b32_e32 v2, 2, v23
	v_lshl_or_b32 v2, v24, 7, v2
	ds_write2_b32 v2, v33, v34 offset1:16
	v_add_u32_e32 v2, 0x400, v2
	ds_write2_b32 v2, v32, v35 offset1:16
.LBB9_19:
	s_or_b64 exec, exec, s[4:5]
	v_cmp_eq_u32_e32 vcc, 0, v1
	s_waitcnt lgkmcnt(0)
	s_barrier
	s_and_saveexec_b64 s[0:1], vcc
	s_cbranch_execz .LBB9_21
; %bb.20:
	v_lshlrev_b32_e32 v5, 2, v0
	ds_read2_b32 v[1:2], v5 offset1:32
	ds_read2_b32 v[3:4], v5 offset0:64 offset1:96
	v_add_u32_e32 v6, 32, v0
	v_add_u32_e32 v7, 64, v0
	s_waitcnt lgkmcnt(1)
	v_cmp_gt_f32_e32 vcc, v2, v1
	v_cndmask_b32_e32 v1, v1, v2, vcc
	v_cndmask_b32_e32 v2, v0, v6, vcc
	s_waitcnt lgkmcnt(0)
	v_cmp_gt_f32_e32 vcc, v3, v1
	v_cndmask_b32_e32 v3, v1, v3, vcc
	v_cndmask_b32_e32 v6, v2, v7, vcc
	ds_read2_b32 v[1:2], v5 offset0:128 offset1:160
	v_cmp_gt_f32_e32 vcc, v4, v3
	v_add_u32_e32 v7, 0x60, v0
	v_cndmask_b32_e32 v3, v3, v4, vcc
	v_cndmask_b32_e32 v4, v6, v7, vcc
	v_add_u32_e32 v6, 0x80, v0
	s_waitcnt lgkmcnt(0)
	v_cmp_gt_f32_e32 vcc, v1, v3
	v_cndmask_b32_e32 v1, v3, v1, vcc
	v_cndmask_b32_e32 v6, v4, v6, vcc
	ds_read2_b32 v[3:4], v5 offset0:192 offset1:224
	v_cmp_gt_f32_e32 vcc, v2, v1
	v_add_u32_e32 v7, 0xa0, v0
	v_cndmask_b32_e32 v1, v1, v2, vcc
	v_cndmask_b32_e32 v2, v6, v7, vcc
	s_waitcnt lgkmcnt(0)
	v_cmp_gt_f32_e32 vcc, v3, v1
	v_add_u32_e32 v5, 0xc0, v0
	v_cndmask_b32_e32 v1, v1, v3, vcc
	v_cndmask_b32_e32 v2, v2, v5, vcc
	v_add_u32_e32 v3, 0xe0, v0
	v_cmp_gt_f32_e32 vcc, v4, v1
	v_cndmask_b32_e32 v4, v1, v4, vcc
	v_cndmask_b32_e32 v1, v2, v3, vcc
	v_lshlrev_b32_e32 v1, 2, v1
	v_lshl_add_u32 v0, s6, 5, v0
	ds_read_b32 v5, v1 offset:1024
	v_ashrrev_i32_e32 v1, 31, v0
	v_lshlrev_b64 v[0:1], 2, v[0:1]
	v_mov_b32_e32 v3, s11
	v_add_co_u32_e32 v2, vcc, s10, v0
	v_addc_co_u32_e32 v3, vcc, v3, v1, vcc
	global_store_dword v[2:3], v4, off
	v_mov_b32_e32 v2, s3
	v_add_co_u32_e32 v0, vcc, s2, v0
	v_addc_co_u32_e32 v1, vcc, v2, v1, vcc
	s_waitcnt lgkmcnt(0)
	global_store_dword v[0:1], v5, off
.LBB9_21:
	s_endpgm
	.section	.rodata,"a",@progbits
	.p2align	6, 0x0
	.amdhsa_kernel _Z7Match10PKfS0_PfPi
		.amdhsa_group_segment_fixed_size 20480
		.amdhsa_private_segment_fixed_size 0
		.amdhsa_kernarg_size 32
		.amdhsa_user_sgpr_count 6
		.amdhsa_user_sgpr_private_segment_buffer 1
		.amdhsa_user_sgpr_dispatch_ptr 0
		.amdhsa_user_sgpr_queue_ptr 0
		.amdhsa_user_sgpr_kernarg_segment_ptr 1
		.amdhsa_user_sgpr_dispatch_id 0
		.amdhsa_user_sgpr_flat_scratch_init 0
		.amdhsa_user_sgpr_private_segment_size 0
		.amdhsa_uses_dynamic_stack 0
		.amdhsa_system_sgpr_private_segment_wavefront_offset 0
		.amdhsa_system_sgpr_workgroup_id_x 1
		.amdhsa_system_sgpr_workgroup_id_y 0
		.amdhsa_system_sgpr_workgroup_id_z 0
		.amdhsa_system_sgpr_workgroup_info 0
		.amdhsa_system_vgpr_workitem_id 1
		.amdhsa_next_free_vgpr 61
		.amdhsa_next_free_sgpr 61
		.amdhsa_reserve_vcc 1
		.amdhsa_reserve_flat_scratch 0
		.amdhsa_float_round_mode_32 0
		.amdhsa_float_round_mode_16_64 0
		.amdhsa_float_denorm_mode_32 3
		.amdhsa_float_denorm_mode_16_64 3
		.amdhsa_dx10_clamp 1
		.amdhsa_ieee_mode 1
		.amdhsa_fp16_overflow 0
		.amdhsa_exception_fp_ieee_invalid_op 0
		.amdhsa_exception_fp_denorm_src 0
		.amdhsa_exception_fp_ieee_div_zero 0
		.amdhsa_exception_fp_ieee_overflow 0
		.amdhsa_exception_fp_ieee_underflow 0
		.amdhsa_exception_fp_ieee_inexact 0
		.amdhsa_exception_int_div_zero 0
	.end_amdhsa_kernel
	.text
.Lfunc_end9:
	.size	_Z7Match10PKfS0_PfPi, .Lfunc_end9-_Z7Match10PKfS0_PfPi
                                        ; -- End function
	.set _Z7Match10PKfS0_PfPi.num_vgpr, 61
	.set _Z7Match10PKfS0_PfPi.num_agpr, 0
	.set _Z7Match10PKfS0_PfPi.numbered_sgpr, 16
	.set _Z7Match10PKfS0_PfPi.num_named_barrier, 0
	.set _Z7Match10PKfS0_PfPi.private_seg_size, 0
	.set _Z7Match10PKfS0_PfPi.uses_vcc, 1
	.set _Z7Match10PKfS0_PfPi.uses_flat_scratch, 0
	.set _Z7Match10PKfS0_PfPi.has_dyn_sized_stack, 0
	.set _Z7Match10PKfS0_PfPi.has_recursion, 0
	.set _Z7Match10PKfS0_PfPi.has_indirect_call, 0
	.section	.AMDGPU.csdata,"",@progbits
; Kernel info:
; codeLenInByte = 2804
; TotalNumSgprs: 20
; NumVgprs: 61
; ScratchSize: 0
; MemoryBound: 0
; FloatMode: 240
; IeeeMode: 1
; LDSByteSize: 20480 bytes/workgroup (compile time only)
; SGPRBlocks: 8
; VGPRBlocks: 15
; NumSGPRsForWavesPerEU: 65
; NumVGPRsForWavesPerEU: 61
; Occupancy: 4
; WaveLimiterHint : 0
; COMPUTE_PGM_RSRC2:SCRATCH_EN: 0
; COMPUTE_PGM_RSRC2:USER_SGPR: 6
; COMPUTE_PGM_RSRC2:TRAP_HANDLER: 0
; COMPUTE_PGM_RSRC2:TGID_X_EN: 1
; COMPUTE_PGM_RSRC2:TGID_Y_EN: 0
; COMPUTE_PGM_RSRC2:TGID_Z_EN: 0
; COMPUTE_PGM_RSRC2:TIDIG_COMP_CNT: 1
	.section	.AMDGPU.gpr_maximums,"",@progbits
	.set amdgpu.max_num_vgpr, 0
	.set amdgpu.max_num_agpr, 0
	.set amdgpu.max_num_sgpr, 0
	.section	.AMDGPU.csdata,"",@progbits
	.type	__hip_cuid_cfa68f801a14e3cf,@object ; @__hip_cuid_cfa68f801a14e3cf
	.section	.bss,"aw",@nobits
	.globl	__hip_cuid_cfa68f801a14e3cf
__hip_cuid_cfa68f801a14e3cf:
	.byte	0                               ; 0x0
	.size	__hip_cuid_cfa68f801a14e3cf, 1

	.ident	"AMD clang version 22.0.0git (https://github.com/RadeonOpenCompute/llvm-project roc-7.2.4 26084 f58b06dce1f9c15707c5f808fd002e18c2accf7e)"
	.section	".note.GNU-stack","",@progbits
	.addrsig
	.addrsig_sym __hip_cuid_cfa68f801a14e3cf
	.amdgpu_metadata
---
amdhsa.kernels:
  - .args:
      - .actual_access:  read_only
        .address_space:  global
        .offset:         0
        .size:           8
        .value_kind:     global_buffer
      - .actual_access:  read_only
        .address_space:  global
        .offset:         8
        .size:           8
        .value_kind:     global_buffer
      - .actual_access:  write_only
        .address_space:  global
        .offset:         16
        .size:           8
        .value_kind:     global_buffer
      - .actual_access:  write_only
        .address_space:  global
        .offset:         24
        .size:           8
        .value_kind:     global_buffer
    .group_segment_fixed_size: 0
    .kernarg_segment_align: 8
    .kernarg_segment_size: 32
    .language:       OpenCL C
    .language_version:
      - 2
      - 0
    .max_flat_workgroup_size: 1024
    .name:           _Z6Match1PKfS0_PfPi
    .private_segment_fixed_size: 0
    .sgpr_count:     28
    .sgpr_spill_count: 0
    .symbol:         _Z6Match1PKfS0_PfPi.kd
    .uniform_work_group_size: 1
    .uses_dynamic_stack: false
    .vgpr_count:     16
    .vgpr_spill_count: 0
    .wavefront_size: 64
  - .args:
      - .actual_access:  read_only
        .address_space:  global
        .offset:         0
        .size:           8
        .value_kind:     global_buffer
      - .actual_access:  read_only
        .address_space:  global
        .offset:         8
        .size:           8
        .value_kind:     global_buffer
      - .actual_access:  write_only
        .address_space:  global
        .offset:         16
        .size:           8
        .value_kind:     global_buffer
      - .actual_access:  write_only
        .address_space:  global
        .offset:         24
        .size:           8
        .value_kind:     global_buffer
    .group_segment_fixed_size: 17408
    .kernarg_segment_align: 8
    .kernarg_segment_size: 32
    .language:       OpenCL C
    .language_version:
      - 2
      - 0
    .max_flat_workgroup_size: 1024
    .name:           _Z6Match2PKfS0_PfPi
    .private_segment_fixed_size: 0
    .sgpr_count:     20
    .sgpr_spill_count: 0
    .symbol:         _Z6Match2PKfS0_PfPi.kd
    .uniform_work_group_size: 1
    .uses_dynamic_stack: false
    .vgpr_count:     32
    .vgpr_spill_count: 0
    .wavefront_size: 64
  - .args:
      - .actual_access:  read_only
        .address_space:  global
        .offset:         0
        .size:           8
        .value_kind:     global_buffer
      - .actual_access:  read_only
        .address_space:  global
        .offset:         8
        .size:           8
        .value_kind:     global_buffer
      - .actual_access:  write_only
        .address_space:  global
        .offset:         16
        .size:           8
        .value_kind:     global_buffer
      - .actual_access:  write_only
        .address_space:  global
        .offset:         24
        .size:           8
        .value_kind:     global_buffer
    .group_segment_fixed_size: 17472
    .kernarg_segment_align: 8
    .kernarg_segment_size: 32
    .language:       OpenCL C
    .language_version:
      - 2
      - 0
    .max_flat_workgroup_size: 1024
    .name:           _Z6Match3PKfS0_PfPi
    .private_segment_fixed_size: 0
    .sgpr_count:     20
    .sgpr_spill_count: 0
    .symbol:         _Z6Match3PKfS0_PfPi.kd
    .uniform_work_group_size: 1
    .uses_dynamic_stack: false
    .vgpr_count:     31
    .vgpr_spill_count: 0
    .wavefront_size: 64
  - .args:
      - .actual_access:  read_only
        .address_space:  global
        .offset:         0
        .size:           8
        .value_kind:     global_buffer
      - .actual_access:  read_only
        .address_space:  global
        .offset:         8
        .size:           8
        .value_kind:     global_buffer
      - .actual_access:  write_only
        .address_space:  global
        .offset:         16
        .size:           8
        .value_kind:     global_buffer
      - .actual_access:  write_only
        .address_space:  global
        .offset:         24
        .size:           8
        .value_kind:     global_buffer
    .group_segment_fixed_size: 17664
    .kernarg_segment_align: 8
    .kernarg_segment_size: 32
    .language:       OpenCL C
    .language_version:
      - 2
      - 0
    .max_flat_workgroup_size: 1024
    .name:           _Z6Match4PKfS0_PfPi
    .private_segment_fixed_size: 0
    .sgpr_count:     20
    .sgpr_spill_count: 0
    .symbol:         _Z6Match4PKfS0_PfPi.kd
    .uniform_work_group_size: 1
    .uses_dynamic_stack: false
    .vgpr_count:     29
    .vgpr_spill_count: 0
    .wavefront_size: 64
  - .args:
      - .actual_access:  read_only
        .address_space:  global
        .offset:         0
        .size:           8
        .value_kind:     global_buffer
      - .actual_access:  read_only
        .address_space:  global
        .offset:         8
        .size:           8
        .value_kind:     global_buffer
      - .actual_access:  write_only
        .address_space:  global
        .offset:         16
        .size:           8
        .value_kind:     global_buffer
      - .actual_access:  write_only
        .address_space:  global
        .offset:         24
        .size:           8
        .value_kind:     global_buffer
    .group_segment_fixed_size: 17664
    .kernarg_segment_align: 8
    .kernarg_segment_size: 32
    .language:       OpenCL C
    .language_version:
      - 2
      - 0
    .max_flat_workgroup_size: 1024
    .name:           _Z6Match5PKfS0_PfPi
    .private_segment_fixed_size: 0
    .sgpr_count:     22
    .sgpr_spill_count: 0
    .symbol:         _Z6Match5PKfS0_PfPi.kd
    .uniform_work_group_size: 1
    .uses_dynamic_stack: false
    .vgpr_count:     32
    .vgpr_spill_count: 0
    .wavefront_size: 64
  - .args:
      - .actual_access:  read_only
        .address_space:  global
        .offset:         0
        .size:           8
        .value_kind:     global_buffer
      - .actual_access:  read_only
        .address_space:  global
        .offset:         8
        .size:           8
        .value_kind:     global_buffer
      - .actual_access:  write_only
        .address_space:  global
        .offset:         16
        .size:           8
        .value_kind:     global_buffer
      - .actual_access:  write_only
        .address_space:  global
        .offset:         24
        .size:           8
        .value_kind:     global_buffer
    .group_segment_fixed_size: 16640
    .kernarg_segment_align: 8
    .kernarg_segment_size: 32
    .language:       OpenCL C
    .language_version:
      - 2
      - 0
    .max_flat_workgroup_size: 1024
    .name:           _Z6Match6PKfS0_PfPi
    .private_segment_fixed_size: 0
    .sgpr_count:     20
    .sgpr_spill_count: 0
    .symbol:         _Z6Match6PKfS0_PfPi.kd
    .uniform_work_group_size: 1
    .uses_dynamic_stack: false
    .vgpr_count:     32
    .vgpr_spill_count: 0
    .wavefront_size: 64
  - .args:
      - .actual_access:  read_only
        .address_space:  global
        .offset:         0
        .size:           8
        .value_kind:     global_buffer
      - .actual_access:  read_only
        .address_space:  global
        .offset:         8
        .size:           8
        .value_kind:     global_buffer
      - .actual_access:  write_only
        .address_space:  global
        .offset:         16
        .size:           8
        .value_kind:     global_buffer
      - .actual_access:  write_only
        .address_space:  global
        .offset:         24
        .size:           8
        .value_kind:     global_buffer
    .group_segment_fixed_size: 32768
    .kernarg_segment_align: 8
    .kernarg_segment_size: 32
    .language:       OpenCL C
    .language_version:
      - 2
      - 0
    .max_flat_workgroup_size: 1024
    .name:           _Z6Match7PKfS0_PfPi
    .private_segment_fixed_size: 0
    .sgpr_count:     20
    .sgpr_spill_count: 0
    .symbol:         _Z6Match7PKfS0_PfPi.kd
    .uniform_work_group_size: 1
    .uses_dynamic_stack: false
    .vgpr_count:     30
    .vgpr_spill_count: 0
    .wavefront_size: 64
  - .args:
      - .actual_access:  read_only
        .address_space:  global
        .offset:         0
        .size:           8
        .value_kind:     global_buffer
      - .actual_access:  read_only
        .address_space:  global
        .offset:         8
        .size:           8
        .value_kind:     global_buffer
      - .actual_access:  write_only
        .address_space:  global
        .offset:         16
        .size:           8
        .value_kind:     global_buffer
      - .actual_access:  write_only
        .address_space:  global
        .offset:         24
        .size:           8
        .value_kind:     global_buffer
    .group_segment_fixed_size: 32768
    .kernarg_segment_align: 8
    .kernarg_segment_size: 32
    .language:       OpenCL C
    .language_version:
      - 2
      - 0
    .max_flat_workgroup_size: 1024
    .name:           _Z6Match8PKfS0_PfPi
    .private_segment_fixed_size: 0
    .sgpr_count:     20
    .sgpr_spill_count: 0
    .symbol:         _Z6Match8PKfS0_PfPi.kd
    .uniform_work_group_size: 1
    .uses_dynamic_stack: false
    .vgpr_count:     48
    .vgpr_spill_count: 0
    .wavefront_size: 64
  - .args:
      - .actual_access:  read_only
        .address_space:  global
        .offset:         0
        .size:           8
        .value_kind:     global_buffer
      - .actual_access:  read_only
        .address_space:  global
        .offset:         8
        .size:           8
        .value_kind:     global_buffer
      - .actual_access:  write_only
        .address_space:  global
        .offset:         16
        .size:           8
        .value_kind:     global_buffer
      - .actual_access:  write_only
        .address_space:  global
        .offset:         24
        .size:           8
        .value_kind:     global_buffer
    .group_segment_fixed_size: 32768
    .kernarg_segment_align: 8
    .kernarg_segment_size: 32
    .language:       OpenCL C
    .language_version:
      - 2
      - 0
    .max_flat_workgroup_size: 1024
    .name:           _Z6Match9PKfS0_PfPi
    .private_segment_fixed_size: 0
    .sgpr_count:     31
    .sgpr_spill_count: 0
    .symbol:         _Z6Match9PKfS0_PfPi.kd
    .uniform_work_group_size: 1
    .uses_dynamic_stack: false
    .vgpr_count:     49
    .vgpr_spill_count: 0
    .wavefront_size: 64
  - .args:
      - .actual_access:  read_only
        .address_space:  global
        .offset:         0
        .size:           8
        .value_kind:     global_buffer
      - .actual_access:  read_only
        .address_space:  global
        .offset:         8
        .size:           8
        .value_kind:     global_buffer
      - .actual_access:  write_only
        .address_space:  global
        .offset:         16
        .size:           8
        .value_kind:     global_buffer
      - .actual_access:  write_only
        .address_space:  global
        .offset:         24
        .size:           8
        .value_kind:     global_buffer
    .group_segment_fixed_size: 20480
    .kernarg_segment_align: 8
    .kernarg_segment_size: 32
    .language:       OpenCL C
    .language_version:
      - 2
      - 0
    .max_flat_workgroup_size: 1024
    .name:           _Z7Match10PKfS0_PfPi
    .private_segment_fixed_size: 0
    .sgpr_count:     20
    .sgpr_spill_count: 0
    .symbol:         _Z7Match10PKfS0_PfPi.kd
    .uniform_work_group_size: 1
    .uses_dynamic_stack: false
    .vgpr_count:     61
    .vgpr_spill_count: 0
    .wavefront_size: 64
amdhsa.target:   amdgcn-amd-amdhsa--gfx906
amdhsa.version:
  - 1
  - 2
...

	.end_amdgpu_metadata
